;; amdgpu-corpus repo=ROCm/rccl kind=compiled arch=gfx90a opt=O3
	.text
	.amdgcn_target "amdgcn-amd-amdhsa--gfx90a"
	.amdhsa_code_object_version 6
	.protected	_Z23ncclDevKernel_Generic_124ncclDevKernelArgsStorageILm4096EE ; -- Begin function _Z23ncclDevKernel_Generic_124ncclDevKernelArgsStorageILm4096EE
	.globl	_Z23ncclDevKernel_Generic_124ncclDevKernelArgsStorageILm4096EE
	.p2align	8
	.type	_Z23ncclDevKernel_Generic_124ncclDevKernelArgsStorageILm4096EE,@function
_Z23ncclDevKernel_Generic_124ncclDevKernelArgsStorageILm4096EE: ; @_Z23ncclDevKernel_Generic_124ncclDevKernelArgsStorageILm4096EE
; %bb.0:
	s_add_u32 flat_scratch_lo, s10, s15
	s_addc_u32 flat_scratch_hi, s11, 0
	v_mov_b32_e32 v40, v0
	s_add_u32 s0, s0, s15
	v_and_b32_e32 v11, 0x3ff, v40
	s_addc_u32 s1, s1, 0
	s_mov_b32 s33, s14
	s_mov_b32 s44, s13
	;; [unrolled: 1-line block ×3, first 2 shown]
	s_mov_b64 s[34:35], s[8:9]
	s_mov_b64 s[36:37], s[6:7]
	s_mov_b64 s[38:39], s[4:5]
	v_cmp_gt_u32_e32 vcc, 12, v11
	s_mov_b32 s32, 0
	s_and_saveexec_b64 s[4:5], vcc
	s_cbranch_execz .LBB0_2
; %bb.1:
	v_lshlrev_b32_e32 v0, 2, v11
	global_load_dword v1, v0, s[36:37]
	s_waitcnt vmcnt(0)
	ds_write_b32 v0, v1 offset:16448
.LBB0_2:
	s_or_b64 exec, exec, s[4:5]
	s_load_dword s18, s[36:37], 0x100c
	v_lshrrev_b32_e32 v12, 6, v11
	v_cmp_lt_i32_e32 vcc, 0, v12
	s_and_saveexec_b64 s[4:5], vcc
	s_xor_b64 s[4:5], exec, s[4:5]
	s_cbranch_execz .LBB0_16
; %bb.3:
	v_cmp_lt_i32_e32 vcc, 2, v12
	s_and_saveexec_b64 s[6:7], vcc
	s_xor_b64 s[6:7], exec, s[6:7]
	s_cbranch_execz .LBB0_8
; %bb.4:
	v_cmp_eq_u32_e32 vcc, 3, v12
	s_and_saveexec_b64 s[8:9], vcc
	s_cbranch_execz .LBB0_7
; %bb.5:
	s_movk_i32 s10, 0xc0
	v_cmp_eq_u32_e32 vcc, s10, v11
	s_and_b64 exec, exec, vcc
	s_cbranch_execz .LBB0_7
; %bb.6:
	v_mov_b32_e32 v0, 0
	ds_write_b32 v0, v0 offset:16500
.LBB0_7:
	s_or_b64 exec, exec, s[8:9]
.LBB0_8:
	s_andn2_saveexec_b64 s[6:7], s[6:7]
	s_cbranch_execz .LBB0_15
; %bb.9:
	v_cmp_eq_u32_e32 vcc, 1, v12
	s_and_saveexec_b64 s[8:9], vcc
	s_cbranch_execz .LBB0_14
; %bb.10:
	s_movk_i32 s10, 0x44
	v_cmp_gt_u32_e32 vcc, s10, v11
	s_and_b64 exec, exec, vcc
	s_cbranch_execz .LBB0_14
; %bb.11:
	v_cmp_eq_u32_e32 vcc, 64, v11
	s_and_saveexec_b64 s[10:11], vcc
	s_cbranch_execz .LBB0_13
; %bb.12:
	v_mov_b32_e32 v0, 0
	v_mov_b32_e32 v1, v0
	ds_write_b64 v0, v[0:1] offset:19736
.LBB0_13:
	s_or_b64 exec, exec, s[10:11]
	s_movk_i32 s10, 0x160
	v_mov_b32_e32 v0, 0xffffeb98
	v_mad_u32_u24 v2, v11, s10, v0
	v_mov_b32_e32 v0, 0
	v_mov_b32_e32 v1, v0
	ds_write_b64 v2, v[0:1]
.LBB0_14:
	s_or_b64 exec, exec, s[8:9]
.LBB0_15:
	s_or_b64 exec, exec, s[6:7]
.LBB0_16:
	s_andn2_saveexec_b64 s[4:5], s[4:5]
	s_cbranch_execz .LBB0_22
; %bb.17:
	s_load_dwordx2 s[8:9], s[36:37], 0x8
	v_lshlrev_b64 v[0:1], v11, 1
	v_add_co_u32_e32 v2, vcc, -1, v0
	v_addc_co_u32_e32 v3, vcc, -1, v1, vcc
	s_waitcnt lgkmcnt(0)
	v_and_b32_e32 v5, s9, v1
	v_and_b32_e32 v4, s8, v0
	s_mov_b64 s[6:7], 0
	v_cmp_eq_u64_e64 s[12:13], 0, v[4:5]
	v_cmp_ne_u64_e32 vcc, 0, v[4:5]
                                        ; implicit-def: $sgpr14
	s_and_saveexec_b64 s[10:11], vcc
	s_cbranch_execz .LBB0_58
; %bb.18:
	v_and_b32_e32 v5, s8, v2
	v_and_b32_e32 v4, s9, v3
	v_bcnt_u32_b32 v5, v5, 0
	v_bcnt_u32_b32 v4, v4, v5
	v_cmp_ne_u32_e32 vcc, s45, v4
	s_andn2_b64 s[12:13], s[12:13], exec
	s_and_b64 s[16:17], vcc, exec
	s_mov_b64 s[6:7], exec
	s_mov_b32 s14, 0
	s_or_b64 s[12:13], s[12:13], s[16:17]
	s_or_b64 exec, exec, s[10:11]
	v_mov_b32_e32 v4, s14
	s_and_saveexec_b64 s[10:11], s[12:13]
	s_cbranch_execnz .LBB0_59
.LBB0_19:
	s_or_b64 exec, exec, s[10:11]
	s_and_saveexec_b64 s[8:9], s[6:7]
	s_cbranch_execz .LBB0_21
.LBB0_20:
	v_add_u32_e32 v0, v4, v11
	v_mov_b32_e32 v1, 0
	ds_write_b32 v1, v0 offset:16496
.LBB0_21:
	s_or_b64 exec, exec, s[8:9]
.LBB0_22:
	s_or_b64 exec, exec, s[4:5]
	v_cmp_eq_u32_e64 s[40:41], 0, v11
	s_waitcnt lgkmcnt(0)
	s_barrier
	s_and_saveexec_b64 s[4:5], s[40:41]
	s_cbranch_execz .LBB0_24
; %bb.23:
	v_mov_b32_e32 v2, 0
	ds_read_b32 v3, v2 offset:16496
	ds_read_b64 v[0:1], v2 offset:16448
	s_movk_i32 s6, 0x180
	s_waitcnt lgkmcnt(1)
	v_mul_hi_i32 v4, v3, s6
	v_mul_lo_u32 v3, v3, s6
	s_waitcnt lgkmcnt(0)
	v_add_co_u32_e32 v0, vcc, v0, v3
	v_addc_co_u32_e32 v1, vcc, v1, v4, vcc
	flat_load_dwordx2 v[0:1], v[0:1] offset:464
	ds_write_b32 v2, v2 offset:16500
	s_waitcnt vmcnt(0) lgkmcnt(0)
	ds_write_b64 v2, v[0:1] offset:16976
.LBB0_24:
	s_or_b64 exec, exec, s[4:5]
	s_and_b32 s48, 0xffff, s18
	v_cmp_lt_i32_e32 vcc, 0, v12
	s_mov_b64 s[4:5], 0
                                        ; implicit-def: $vgpr0_vgpr1
                                        ; implicit-def: $vgpr2
	s_and_saveexec_b64 s[6:7], vcc
	s_xor_b64 s[8:9], exec, s[6:7]
	s_cbranch_execz .LBB0_54
; %bb.25:
	v_cmp_ne_u32_e32 vcc, 1, v12
	s_and_saveexec_b64 s[4:5], vcc
	s_xor_b64 s[10:11], exec, s[4:5]
	s_cbranch_execz .LBB0_62
; %bb.26:
	v_add_u32_e32 v18, 0xffffff80, v11
	v_ashrrev_i16_e32 v0, 15, v18
	v_lshrrev_b16_e32 v0, 10, v0
	v_add_u16_e32 v0, v18, v0
	v_and_b32_e32 v0, 0xffffffc0, v0
	v_sub_u16_e32 v13, v18, v0
	v_bfe_i32 v0, v13, 0, 16
	s_add_i32 s18, s48, 0xffffff80
	v_lshlrev_b64 v[8:9], v0, 1
	v_add_co_u32_e32 v15, vcc, -1, v8
	s_add_u32 s20, s36, 48
	s_movk_i32 s19, 0xffc0
	v_mul_u32_u24_e32 v14, 0x1010, v12
	v_addc_co_u32_e32 v16, vcc, -1, v9, vcc
	s_addc_u32 s21, s37, 0
	s_mov_b32 s22, 0
	v_mov_b32_e32 v17, 0
	s_mov_b32 s12, s45
                                        ; implicit-def: $vgpr0_vgpr1_vgpr2_vgpr3
	s_branch .LBB0_29
.LBB0_27:                               ;   in Loop: Header=BB0_29 Depth=1
	s_or_b64 exec, exec, s[16:17]
	s_mov_b32 s15, s12
	v_mov_b32_e32 v4, v18
.LBB0_28:                               ;   in Loop: Header=BB0_29 Depth=1
	s_and_b64 vcc, exec, s[6:7]
	s_mov_b32 s12, s15
	v_mov_b32_e32 v18, v4
	s_cbranch_vccnz .LBB0_62
.LBB0_29:                               ; =>This Inner Loop Header: Depth=1
	s_ashr_i32 s13, s12, 31
	s_lshl_b64 s[4:5], s[12:13], 4
	s_add_u32 s4, s20, s4
	s_addc_u32 s5, s21, s5
	s_load_dwordx2 s[6:7], s[4:5], 0x8
	s_waitcnt lgkmcnt(0)
	v_and_b32_e32 v5, s7, v9
	v_and_b32_e32 v4, s6, v8
	v_cmp_ne_u64_e32 vcc, 0, v[4:5]
	s_and_saveexec_b64 s[14:15], vcc
	s_cbranch_execz .LBB0_31
; %bb.30:                               ;   in Loop: Header=BB0_29 Depth=1
	v_and_b32_e32 v5, s6, v15
	v_and_b32_e32 v4, s7, v16
	v_bcnt_u32_b32 v5, v5, 0
	v_bcnt_u32_b32 v4, v4, v5
	v_add_u32_e32 v4, v14, v4
	ds_write_b8 v4, v13
.LBB0_31:                               ;   in Loop: Header=BB0_29 Depth=1
	s_or_b64 exec, exec, s[14:15]
	s_load_dwordx2 s[14:15], s[4:5], 0x0
	s_bcnt1_i32_b64 s23, s[6:7]
	s_waitcnt lgkmcnt(0)
	s_bfe_u32 s13, s14, 0x2000f
	s_cmp_lt_i32 s13, 1
	s_cbranch_scc1 .LBB0_34
; %bb.32:                               ;   in Loop: Header=BB0_29 Depth=1
	s_cmp_lg_u32 s13, 1
	s_cbranch_scc0 .LBB0_35
; %bb.33:                               ;   in Loop: Header=BB0_29 Depth=1
	s_mov_b32 s25, 20
	v_mul_u32_u24_e64 v4, s23, 20
	s_movk_i32 s24, 0x140
	s_cbranch_execz .LBB0_36
	s_branch .LBB0_37
.LBB0_34:                               ;   in Loop: Header=BB0_29 Depth=1
                                        ; implicit-def: $vgpr4
                                        ; implicit-def: $sgpr24
                                        ; implicit-def: $sgpr25
	s_branch .LBB0_38
.LBB0_35:                               ;   in Loop: Header=BB0_29 Depth=1
                                        ; implicit-def: $vgpr4
                                        ; implicit-def: $sgpr24
                                        ; implicit-def: $sgpr25
.LBB0_36:                               ;   in Loop: Header=BB0_29 Depth=1
	s_lshl_b32 s4, s23, 3
	s_mov_b32 s25, 8
	s_movk_i32 s24, 0x80
	v_mov_b32_e32 v4, s4
.LBB0_37:                               ;   in Loop: Header=BB0_29 Depth=1
	s_cbranch_execnz .LBB0_39
.LBB0_38:                               ;   in Loop: Header=BB0_29 Depth=1
	s_lshl_b32 s4, s23, 2
	s_mov_b32 s24, 64
	s_mov_b32 s25, 4
	v_mov_b32_e32 v4, s4
.LBB0_39:                               ;   in Loop: Header=BB0_29 Depth=1
	v_cmp_eq_u32_e64 s[4:5], 0, v18
	s_and_saveexec_b64 s[6:7], s[4:5]
	s_cbranch_execz .LBB0_41
; %bb.40:                               ;   in Loop: Header=BB0_29 Depth=1
	v_mov_b32_e32 v5, s24
	ds_write_b32 v17, v5 offset:17008
	s_or_b64 exec, exec, s[6:7]
	v_cmp_lt_i32_e32 vcc, v18, v4
	s_and_saveexec_b64 s[16:17], vcc
	s_cbranch_execz .LBB0_49
	s_branch .LBB0_42
.LBB0_41:                               ;   in Loop: Header=BB0_29 Depth=1
	s_or_b64 exec, exec, s[6:7]
	v_cmp_lt_i32_e32 vcc, v18, v4
	s_and_saveexec_b64 s[16:17], vcc
	s_cbranch_execz .LBB0_49
.LBB0_42:                               ;   in Loop: Header=BB0_29 Depth=1
	v_cvt_f32_u32_e32 v4, s25
	s_sub_i32 s6, 0, s25
	v_sub_u32_e32 v6, 0, v18
	v_max_i32_e32 v6, v18, v6
	v_rcp_iflag_f32_e32 v4, v4
	v_ashrrev_i32_e32 v5, 31, v18
	v_mul_f32_e32 v4, 0x4f7ffffe, v4
	v_cvt_u32_f32_e32 v4, v4
	v_mul_lo_u32 v7, s6, v4
	v_mul_hi_u32 v7, v4, v7
	v_add_u32_e32 v4, v4, v7
	v_mul_hi_u32 v4, v6, v4
	v_mul_lo_u32 v7, v4, s25
	v_sub_u32_e32 v6, v6, v7
	v_add_u32_e32 v10, 1, v4
	v_cmp_le_u32_e32 vcc, s25, v6
	v_subrev_u32_e32 v7, s25, v6
	v_cndmask_b32_e32 v4, v4, v10, vcc
	v_cndmask_b32_e32 v6, v6, v7, vcc
	v_add_u32_e32 v7, 1, v4
	v_cmp_le_u32_e32 vcc, s25, v6
	v_cndmask_b32_e32 v4, v4, v7, vcc
	v_xor_b32_e32 v4, v4, v5
	v_sub_u32_e32 v19, v4, v5
	ds_read_u8 v5, v17 offset:16472
	v_add_u32_e32 v4, v14, v19
	ds_read_u8 v4, v4
	v_mul_lo_u32 v6, v19, s25
	v_sub_u32_e32 v20, v18, v6
	s_waitcnt lgkmcnt(1)
	v_cmp_ne_u16_e64 s[6:7], 0, v5
	s_and_b64 vcc, exec, s[6:7]
	s_cbranch_vccz .LBB0_45
; %bb.43:                               ;   in Loop: Header=BB0_29 Depth=1
	s_and_b64 vcc, exec, s[6:7]
	s_cbranch_vccz .LBB0_46
.LBB0_44:                               ;   in Loop: Header=BB0_29 Depth=1
	ds_read_b32 v5, v17 offset:16476
	ds_read_b64 v[6:7], v17 offset:16480
	s_waitcnt lgkmcnt(2)
	v_mul_u32_u24_e32 v4, s24, v4
	v_lshlrev_b32_e32 v10, 4, v20
	v_add3_u32 v4, v10, s15, v4
	s_waitcnt lgkmcnt(1)
	v_and_b32_e32 v4, v5, v4
	s_waitcnt lgkmcnt(0)
	v_add_co_u32_e32 v4, vcc, v6, v4
	v_addc_co_u32_e32 v5, vcc, 0, v7, vcc
	flat_load_dwordx4 v[4:7], v[4:5]
	s_cbranch_execz .LBB0_47
	s_branch .LBB0_48
.LBB0_45:                               ;   in Loop: Header=BB0_29 Depth=1
	v_lshlrev_b32_e32 v0, 4, v20
	s_waitcnt lgkmcnt(0)
	v_mul_u32_u24_e32 v1, s24, v4
	v_add3_u32 v0, v0, s15, v1
	global_load_dwordx4 v[0:3], v0, s[36:37]
	s_and_b64 vcc, exec, s[6:7]
	s_cbranch_vccnz .LBB0_44
.LBB0_46:                               ;   in Loop: Header=BB0_29 Depth=1
                                        ; implicit-def: $vgpr4_vgpr5_vgpr6_vgpr7
                                        ; implicit-def: $vgpr10
.LBB0_47:                               ;   in Loop: Header=BB0_29 Depth=1
	s_waitcnt vmcnt(0) lgkmcnt(0)
	v_pk_mov_b32 v[6:7], v[2:3], v[2:3] op_sel:[0,1]
	v_lshlrev_b32_e32 v10, 4, v20
	v_pk_mov_b32 v[4:5], v[0:1], v[0:1] op_sel:[0,1]
.LBB0_48:                               ;   in Loop: Header=BB0_29 Depth=1
	s_waitcnt vmcnt(0)
	v_add_u32_e32 v0, s22, v19
	v_mad_u64_u32 v[0:1], s[6:7], v0, s24, v[10:11]
	s_waitcnt lgkmcnt(0)
	ds_write_b128 v0, v[4:7] offset:18704
	v_pk_mov_b32 v[0:1], v[4:5], v[4:5] op_sel:[0,1]
	v_pk_mov_b32 v[2:3], v[6:7], v[6:7] op_sel:[0,1]
.LBB0_49:                               ;   in Loop: Header=BB0_29 Depth=1
	s_or_b64 exec, exec, s[16:17]
	s_bitcmp0_b32 s14, 14
	s_cselect_b64 s[6:7], -1, 0
	s_and_b64 vcc, exec, s[6:7]
	s_cbranch_vccnz .LBB0_51
; %bb.50:                               ;   in Loop: Header=BB0_29 Depth=1
	v_mov_b32_e32 v4, s18
	v_cmp_gt_i32_e32 vcc, 64, v18
	s_and_b32 s15, s14, 0x3fff
	v_cndmask_b32_e32 v4, 0, v4, vcc
	s_add_i32 s15, s15, s12
	v_add3_u32 v4, v18, v4, s19
	s_add_i32 s22, s22, s23
	s_cbranch_execnz .LBB0_28
	s_branch .LBB0_52
.LBB0_51:                               ;   in Loop: Header=BB0_29 Depth=1
                                        ; implicit-def: $vgpr4
                                        ; implicit-def: $sgpr15
	s_add_i32 s22, s22, s23
.LBB0_52:                               ;   in Loop: Header=BB0_29 Depth=1
	s_and_saveexec_b64 s[16:17], s[4:5]
	s_cbranch_execz .LBB0_27
; %bb.53:                               ;   in Loop: Header=BB0_29 Depth=1
	s_and_b32 s4, s14, 0x3fff
	s_add_i32 s5, s4, s12
	s_cmp_lg_u32 s4, 0
	s_cselect_b32 s4, s5, -1
	v_mov_b32_e32 v4, s12
	v_mov_b32_e32 v5, s4
	ds_write_b64 v17, v[4:5] offset:16992
	v_mov_b32_e32 v4, s13
	ds_write_b8 v17, v4 offset:17000
	v_mov_b32_e32 v4, s22
	s_lshr_b32 s4, s14, 17
	ds_write_b32 v17, v4 offset:17004
	v_mov_b32_e32 v4, s4
	v_mov_b32_e32 v18, 0
	ds_write_b16 v17, v4 offset:17002
	s_branch .LBB0_27
.LBB0_54:
	s_andn2_saveexec_b64 s[6:7], s[8:9]
	s_cbranch_execz .LBB0_67
.LBB0_55:
	v_cmp_gt_u32_e32 vcc, 6, v11
	s_mov_b64 s[10:11], s[4:5]
                                        ; implicit-def: $vgpr0_vgpr1
                                        ; implicit-def: $vgpr2
	s_and_saveexec_b64 s[8:9], vcc
	s_cbranch_execz .LBB0_57
; %bb.56:
	v_mov_b32_e32 v0, 0
	ds_read_b64 v[0:1], v0 offset:16448
	v_lshlrev_b32_e32 v2, 4, v11
	s_or_b64 s[10:11], s[4:5], exec
	s_waitcnt lgkmcnt(0)
	v_add_co_u32_e32 v0, vcc, v0, v2
	v_addc_co_u32_e32 v1, vcc, 0, v1, vcc
	v_add_u32_e32 v2, 0x4080, v2
.LBB0_57:
	s_or_b64 exec, exec, s[8:9]
	s_andn2_b64 s[4:5], s[4:5], exec
	s_and_b64 s[8:9], s[10:11], exec
	s_or_b64 s[4:5], s[4:5], s[8:9]
	s_or_b64 exec, exec, s[6:7]
	s_and_saveexec_b64 s[6:7], s[4:5]
	s_cbranch_execnz .LBB0_68
	s_branch .LBB0_69
.LBB0_58:
	s_or_b64 exec, exec, s[10:11]
	v_mov_b32_e32 v4, s14
	s_and_saveexec_b64 s[10:11], s[12:13]
	s_cbranch_execz .LBB0_19
.LBB0_59:
	s_load_dwordx2 s[16:17], s[36:37], 0x10
	s_mov_b64 s[12:13], 0
                                        ; implicit-def: $sgpr19
	s_waitcnt lgkmcnt(0)
	v_and_b32_e32 v1, s17, v1
	v_and_b32_e32 v0, s16, v0
	v_cmp_ne_u64_e32 vcc, 0, v[0:1]
	s_and_saveexec_b64 s[14:15], vcc
	s_xor_b64 s[14:15], exec, s[14:15]
; %bb.60:
	v_and_b32_e32 v1, s16, v2
	v_and_b32_e32 v0, s17, v3
	v_bcnt_u32_b32 v1, v1, 0
	s_bcnt1_i32_b64 s19, s[8:9]
	v_bcnt_u32_b32 v0, v0, v1
	v_add_u32_e32 v0, s19, v0
	v_cmp_eq_u32_e32 vcc, s45, v0
	s_and_b64 s[12:13], vcc, exec
; %bb.61:
	s_or_b64 exec, exec, s[14:15]
	s_andn2_b64 s[6:7], s[6:7], exec
	s_and_b64 s[8:9], s[12:13], exec
	v_mov_b32_e32 v4, s19
	s_or_b64 s[6:7], s[6:7], s[8:9]
	s_or_b64 exec, exec, s[10:11]
	s_and_saveexec_b64 s[8:9], s[6:7]
	s_cbranch_execnz .LBB0_20
	s_branch .LBB0_21
.LBB0_62:
	s_or_saveexec_b64 s[4:5], s[10:11]
	s_mov_b64 s[6:7], 0
                                        ; implicit-def: $vgpr0_vgpr1
                                        ; implicit-def: $vgpr2
	s_xor_b64 exec, exec, s[4:5]
	s_cbranch_execz .LBB0_66
; %bb.63:
	s_movk_i32 s6, 0x58
	v_cmp_gt_u32_e32 vcc, s6, v11
	s_mov_b64 s[6:7], 0
                                        ; implicit-def: $vgpr0_vgpr1
                                        ; implicit-def: $vgpr2
	s_and_saveexec_b64 s[10:11], vcc
	s_xor_b64 s[10:11], exec, s[10:11]
	s_cbranch_execz .LBB0_65
; %bb.64:
	v_mov_b32_e32 v0, 0
	ds_read_b32 v2, v0 offset:16496
	ds_read_b64 v[0:1], v0 offset:16448
	s_movk_i32 s12, 0x180
	s_mov_b64 s[6:7], exec
	s_waitcnt lgkmcnt(1)
	v_mul_hi_i32 v3, v2, s12
	v_mul_lo_u32 v2, v2, s12
	s_waitcnt lgkmcnt(0)
	v_add_co_u32_e32 v0, vcc, v0, v2
	v_addc_co_u32_e32 v1, vcc, v1, v3, vcc
	v_add_co_u32_e32 v0, vcc, 0x60, v0
	v_lshlrev_b32_e32 v2, 4, v11
	v_addc_co_u32_e32 v1, vcc, 0, v1, vcc
	v_add_u32_e32 v3, 0xfffffc00, v2
	v_ashrrev_i32_e32 v4, 31, v3
	v_add_co_u32_e32 v0, vcc, v0, v3
	v_addc_co_u32_e32 v1, vcc, v1, v4, vcc
	v_add_u32_e32 v2, 0x3ce0, v2
.LBB0_65:
	s_or_b64 exec, exec, s[10:11]
	s_and_b64 s[6:7], s[6:7], exec
.LBB0_66:
	s_or_b64 exec, exec, s[4:5]
	s_and_b64 s[4:5], s[6:7], exec
	s_andn2_saveexec_b64 s[6:7], s[8:9]
	s_cbranch_execnz .LBB0_55
.LBB0_67:
	s_or_b64 exec, exec, s[6:7]
	s_and_saveexec_b64 s[6:7], s[4:5]
	s_cbranch_execz .LBB0_69
.LBB0_68:
	flat_load_dwordx2 v[4:5], v[0:1]
	s_waitcnt vmcnt(0) lgkmcnt(0)
	ds_write_b64 v2, v[4:5]
	flat_load_dwordx2 v[0:1], v[0:1] offset:8
	s_waitcnt vmcnt(0) lgkmcnt(0)
	ds_write_b64 v2, v[0:1] offset:8
.LBB0_69:
	s_or_b64 exec, exec, s[6:7]
	v_mov_b32_e32 v42, 0
	s_waitcnt lgkmcnt(0)
	s_barrier
	ds_read_b32 v0, v42 offset:16500
	s_waitcnt lgkmcnt(0)
	v_cmp_ne_u32_e32 vcc, 0, v0
	s_cbranch_vccz .LBB0_82
.LBB0_70:
	s_and_saveexec_b64 s[4:5], s[40:41]
	s_cbranch_execz .LBB0_81
; %bb.71:
	v_mov_b32_e32 v6, 0
	ds_read_b64 v[2:3], v6 offset:16976
	ds_read_b32 v7, v6 offset:17004
	s_waitcnt lgkmcnt(0)
	v_add_co_u32_e32 v0, vcc, 1, v2
	v_addc_co_u32_e32 v1, vcc, 0, v3, vcc
	v_ashrrev_i32_e32 v5, 31, v7
	v_add_co_u32_e32 v4, vcc, v2, v7
	v_addc_co_u32_e32 v5, vcc, v3, v5, vcc
	v_cmp_gt_u64_e32 vcc, v[0:1], v[4:5]
	s_cbranch_vccnz .LBB0_80
; %bb.72:
	ds_read_u8 v8, v6 offset:17000
	s_movk_i32 s6, 0x494e
	s_movk_i32 s7, 0x491a
	s_branch .LBB0_74
.LBB0_73:                               ;   in Loop: Header=BB0_74 Depth=1
	v_add_co_u32_e32 v0, vcc, 1, v0
	v_addc_co_u32_e32 v1, vcc, 0, v1, vcc
	s_waitcnt lgkmcnt(0)
	v_ashrrev_i32_e32 v5, 31, v7
	v_add_co_u32_e32 v4, vcc, v2, v7
	v_addc_co_u32_e32 v5, vcc, v3, v5, vcc
	v_cmp_le_u64_e32 vcc, v[0:1], v[4:5]
	s_add_i32 s6, s6, 64
	s_addk_i32 s7, 0x80
	s_cbranch_vccz .LBB0_80
.LBB0_74:                               ; =>This Inner Loop Header: Depth=1
	s_waitcnt lgkmcnt(0)
	v_cmp_ne_u16_sdwa s[4:5], v8, v6 src0_sel:BYTE_0 src1_sel:DWORD
	s_and_b64 vcc, exec, s[4:5]
	s_cbranch_vccz .LBB0_79
; %bb.75:                               ;   in Loop: Header=BB0_74 Depth=1
	v_mov_b32_e32 v4, s7
	ds_read_u8 v4, v4
	s_waitcnt lgkmcnt(0)
	v_and_b32_e32 v4, 1, v4
	s_cbranch_execnz .LBB0_77
.LBB0_76:                               ;   in Loop: Header=BB0_74 Depth=1
	v_mov_b32_e32 v4, s6
	ds_read_u16 v4, v4
	s_waitcnt lgkmcnt(0)
	v_bfe_u32 v4, v4, 6, 1
.LBB0_77:                               ;   in Loop: Header=BB0_74 Depth=1
	v_cmp_eq_u32_e32 vcc, 0, v4
	s_cbranch_vccnz .LBB0_73
; %bb.78:                               ;   in Loop: Header=BB0_74 Depth=1
	s_memrealtime s[4:5]
	ds_read_u8 v8, v6 offset:17000
	ds_read_b32 v2, v6 offset:16496
	ds_read_b64 v[4:5], v6 offset:16600
	s_waitcnt lgkmcnt(0)
	v_ashrrev_i32_e32 v3, 31, v2
	v_lshlrev_b64 v[2:3], 10, v[2:3]
	v_add_co_u32_e32 v2, vcc, v4, v2
	v_and_b32_e32 v4, 63, v0
	v_addc_co_u32_e32 v3, vcc, v5, v3, vcc
	v_lshlrev_b32_e32 v4, 4, v4
	v_add_co_u32_e32 v4, vcc, v2, v4
	v_addc_co_u32_e32 v5, vcc, 0, v3, vcc
	v_mov_b32_e32 v2, s4
	v_mov_b32_e32 v3, s5
	flat_store_dwordx4 v[4:5], v[0:3]
	ds_read_b64 v[2:3], v6 offset:16976
	ds_read_b32 v7, v6 offset:17004
	s_branch .LBB0_73
.LBB0_79:                               ;   in Loop: Header=BB0_74 Depth=1
                                        ; implicit-def: $vgpr4
	s_branch .LBB0_76
.LBB0_80:
	v_mov_b32_e32 v2, 0
	ds_read_b32 v3, v2 offset:16496
	ds_read_b64 v[0:1], v2 offset:16448
	s_movk_i32 s4, 0x180
	ds_write_b64 v2, v[4:5] offset:16976
	s_waitcnt lgkmcnt(0)
	v_mul_hi_i32 v2, v3, s4
	v_mul_lo_u32 v3, v3, s4
	v_add_co_u32_e32 v0, vcc, v0, v3
	v_addc_co_u32_e32 v1, vcc, v1, v2, vcc
	flat_store_dwordx2 v[0:1], v[4:5] offset:464
.LBB0_81:
	s_endpgm
.LBB0_82:
	s_movk_i32 s4, 0x44
	v_cmp_eq_u32_e32 vcc, 1, v12
	v_cmp_gt_u32_e64 s[4:5], s4, v11
	s_and_b64 s[46:47], s[4:5], vcc
	v_lshlrev_b64 v[44:45], v11, 1
	s_movk_i32 s4, 0x160
	v_mov_b32_e32 v0, 0xffffeb98
	v_add_co_u32_e32 v56, vcc, -1, v44
	s_add_u32 s49, s36, 48
	v_cmp_eq_u32_e64 s[42:43], 64, v11
	v_mad_u32_u24 v41, v11, s4, v0
	v_and_b32_e32 v46, 63, v11
	v_mul_u32_u24_e32 v47, 0x1010, v12
	v_addc_co_u32_e32 v57, vcc, -1, v45, vcc
	s_addc_u32 s50, s37, 0
	s_movk_i32 s51, 0x58
	s_movk_i32 s52, 0xffc0
	v_mov_b32_e32 v58, 0x57
	v_mov_b32_e32 v59, 0x54
	;; [unrolled: 1-line block ×7, first 2 shown]
	s_branch .LBB0_84
.LBB0_83:                               ;   in Loop: Header=BB0_84 Depth=1
	s_waitcnt lgkmcnt(0)
	s_barrier
	ds_read_b32 v0, v42 offset:16500
	s_waitcnt lgkmcnt(0)
	v_readfirstlane_b32 s4, v0
	s_cmp_lg_u32 s4, 0
	s_cselect_b64 s[4:5], -1, 0
	s_and_b64 vcc, exec, s[4:5]
	s_cbranch_vccnz .LBB0_70
.LBB0_84:                               ; =>This Loop Header: Depth=1
                                        ;     Child Loop BB0_88 Depth 2
                                        ;     Child Loop BB0_579 Depth 2
	;; [unrolled: 1-line block ×3, first 2 shown]
	s_and_saveexec_b64 s[4:5], s[40:41]
	s_cbranch_execz .LBB0_94
; %bb.85:                               ;   in Loop: Header=BB0_84 Depth=1
	ds_read_b64 v[2:3], v42 offset:16976
	ds_read_b32 v4, v42 offset:17004
	s_waitcnt lgkmcnt(0)
	v_add_co_u32_e32 v0, vcc, 1, v2
	v_addc_co_u32_e32 v1, vcc, 0, v3, vcc
	s_waitcnt lgkmcnt(0)
	v_ashrrev_i32_e32 v5, 31, v4
	v_add_co_u32_e32 v6, vcc, v2, v4
	v_addc_co_u32_e32 v7, vcc, v3, v5, vcc
	v_cmp_gt_u64_e32 vcc, v[0:1], v[6:7]
	s_cbranch_vccnz .LBB0_94
; %bb.86:                               ;   in Loop: Header=BB0_84 Depth=1
	ds_read_u8 v5, v42 offset:17000
	s_movk_i32 s8, 0x494e
	s_movk_i32 s9, 0x491a
	s_branch .LBB0_88
.LBB0_87:                               ;   in Loop: Header=BB0_88 Depth=2
	v_add_co_u32_e32 v0, vcc, 1, v0
	v_addc_co_u32_e32 v1, vcc, 0, v1, vcc
	s_waitcnt lgkmcnt(0)
	v_ashrrev_i32_e32 v7, 31, v4
	v_add_co_u32_e32 v6, vcc, v2, v4
	v_addc_co_u32_e32 v7, vcc, v3, v7, vcc
	v_cmp_le_u64_e32 vcc, v[0:1], v[6:7]
	s_add_i32 s8, s8, 64
	s_addk_i32 s9, 0x80
	s_cbranch_vccz .LBB0_94
.LBB0_88:                               ;   Parent Loop BB0_84 Depth=1
                                        ; =>  This Inner Loop Header: Depth=2
	s_waitcnt lgkmcnt(0)
	v_cmp_ne_u16_sdwa s[6:7], v5, v42 src0_sel:BYTE_0 src1_sel:DWORD
	s_and_b64 vcc, exec, s[6:7]
	s_cbranch_vccz .LBB0_93
; %bb.89:                               ;   in Loop: Header=BB0_88 Depth=2
	v_mov_b32_e32 v6, s9
	ds_read_u8 v6, v6
	s_waitcnt lgkmcnt(0)
	v_and_b32_e32 v6, 1, v6
	s_cbranch_execnz .LBB0_91
.LBB0_90:                               ;   in Loop: Header=BB0_88 Depth=2
	v_mov_b32_e32 v6, s8
	ds_read_u16 v6, v6
	s_waitcnt lgkmcnt(0)
	v_bfe_u32 v6, v6, 6, 1
.LBB0_91:                               ;   in Loop: Header=BB0_88 Depth=2
	v_cmp_eq_u32_e32 vcc, 0, v6
	s_cbranch_vccnz .LBB0_87
; %bb.92:                               ;   in Loop: Header=BB0_88 Depth=2
	s_memrealtime s[6:7]
	ds_read_u8 v5, v42 offset:17000
	ds_read_b32 v2, v42 offset:16496
	ds_read_b64 v[6:7], v42 offset:16592
	v_and_b32_e32 v4, 63, v0
	v_lshlrev_b32_e32 v4, 4, v4
	s_waitcnt lgkmcnt(0)
	v_ashrrev_i32_e32 v3, 31, v2
	v_lshlrev_b64 v[2:3], 10, v[2:3]
	v_add_co_u32_e32 v2, vcc, v6, v2
	v_addc_co_u32_e32 v3, vcc, v7, v3, vcc
	v_add_co_u32_e32 v6, vcc, v2, v4
	v_addc_co_u32_e32 v7, vcc, 0, v3, vcc
	v_mov_b32_e32 v2, s6
	v_mov_b32_e32 v3, s7
	flat_store_dwordx4 v[6:7], v[0:3]
	ds_read_b64 v[2:3], v42 offset:16976
	ds_read_b32 v4, v42 offset:17004
	s_branch .LBB0_87
.LBB0_93:                               ;   in Loop: Header=BB0_88 Depth=2
                                        ; implicit-def: $vgpr6
	s_branch .LBB0_90
.LBB0_94:                               ;   in Loop: Header=BB0_84 Depth=1
	s_or_b64 exec, exec, s[4:5]
	ds_read_u16 v0, v42 offset:17002
	s_mov_b64 s[4:5], -1
	s_waitcnt lgkmcnt(0)
	v_cmp_lt_u32_e32 vcc, s51, v0
	v_readfirstlane_b32 s53, v0
	s_cbranch_vccz .LBB0_259
; %bb.95:                               ;   in Loop: Header=BB0_84 Depth=1
	s_cmpk_gt_u32 s53, 0x85
	s_cbranch_scc0 .LBB0_174
; %bb.96:                               ;   in Loop: Header=BB0_84 Depth=1
	s_cmpk_gt_u32 s53, 0x9b
	s_cbranch_scc0 .LBB0_136
	;; [unrolled: 3-line block ×5, first 2 shown]
; %bb.100:                              ;   in Loop: Header=BB0_84 Depth=1
	s_cmpk_gt_u32 s53, 0xb1
	s_cbranch_scc0 .LBB0_102
; %bb.101:                              ;   in Loop: Header=BB0_84 Depth=1
	s_add_u32 s8, s36, 0x1000
	s_addc_u32 s9, s37, 0
	s_mov_b64 s[4:5], s[38:39]
	s_mov_b64 s[10:11], s[34:35]
	s_mov_b32 s12, s45
	s_mov_b32 s13, s44
	;; [unrolled: 1-line block ×3, first 2 shown]
	v_mov_b32_e32 v31, v40
	s_getpc_b64 s[6:7]
	s_add_u32 s6, s6, _Z50ncclDevFunc_AlltoAllPivot_RING_SIMPLE_Sum_i8_0_0_1v@rel32@lo+4
	s_addc_u32 s7, s7, _Z50ncclDevFunc_AlltoAllPivot_RING_SIMPLE_Sum_i8_0_0_1v@rel32@hi+12
	s_swappc_b64 s[30:31], s[6:7]
	s_mov_b64 s[4:5], 0
.LBB0_102:                              ;   in Loop: Header=BB0_84 Depth=1
	s_andn2_b64 vcc, exec, s[4:5]
	s_cbranch_vccnz .LBB0_104
; %bb.103:                              ;   in Loop: Header=BB0_84 Depth=1
	s_add_u32 s8, s36, 0x1000
	s_addc_u32 s9, s37, 0
	s_mov_b64 s[4:5], s[38:39]
	s_mov_b64 s[10:11], s[34:35]
	s_mov_b32 s12, s45
	s_mov_b32 s13, s44
	;; [unrolled: 1-line block ×3, first 2 shown]
	v_mov_b32_e32 v31, v40
	s_getpc_b64 s[6:7]
	s_add_u32 s6, s6, _Z45ncclDevFunc_SendRecv_RING_SIMPLE_Sum_i8_0_0_1v@rel32@lo+4
	s_addc_u32 s7, s7, _Z45ncclDevFunc_SendRecv_RING_SIMPLE_Sum_i8_0_0_1v@rel32@hi+12
	s_swappc_b64 s[30:31], s[6:7]
.LBB0_104:                              ;   in Loop: Header=BB0_84 Depth=1
	s_mov_b64 s[4:5], 0
.LBB0_105:                              ;   in Loop: Header=BB0_84 Depth=1
	s_andn2_b64 vcc, exec, s[4:5]
	s_cbranch_vccnz .LBB0_110
; %bb.106:                              ;   in Loop: Header=BB0_84 Depth=1
	s_cmpk_lg_i32 s53, 0xad
	s_mov_b64 s[4:5], -1
	s_cbranch_scc0 .LBB0_108
; %bb.107:                              ;   in Loop: Header=BB0_84 Depth=1
	s_add_u32 s8, s36, 0x1000
	s_addc_u32 s9, s37, 0
	s_mov_b64 s[4:5], s[38:39]
	s_mov_b64 s[10:11], s[34:35]
	s_mov_b32 s12, s45
	s_mov_b32 s13, s44
	s_mov_b32 s14, s33
	v_mov_b32_e32 v31, v40
	s_getpc_b64 s[6:7]
	s_add_u32 s6, s6, _Z54ncclDevFunc_AllReduce_RING_SIMPLE_SumPostDiv_u64_0_0_1v@rel32@lo+4
	s_addc_u32 s7, s7, _Z54ncclDevFunc_AllReduce_RING_SIMPLE_SumPostDiv_u64_0_0_1v@rel32@hi+12
	s_swappc_b64 s[30:31], s[6:7]
	s_mov_b64 s[4:5], 0
.LBB0_108:                              ;   in Loop: Header=BB0_84 Depth=1
	s_andn2_b64 vcc, exec, s[4:5]
	s_cbranch_vccnz .LBB0_110
; %bb.109:                              ;   in Loop: Header=BB0_84 Depth=1
	s_add_u32 s8, s36, 0x1000
	s_addc_u32 s9, s37, 0
	s_mov_b64 s[4:5], s[38:39]
	s_mov_b64 s[10:11], s[34:35]
	s_mov_b32 s12, s45
	s_mov_b32 s13, s44
	;; [unrolled: 1-line block ×3, first 2 shown]
	v_mov_b32_e32 v31, v40
	s_getpc_b64 s[6:7]
	s_add_u32 s6, s6, _Z54ncclDevFunc_AllReduce_RING_SIMPLE_SumPostDiv_u32_0_0_1v@rel32@lo+4
	s_addc_u32 s7, s7, _Z54ncclDevFunc_AllReduce_RING_SIMPLE_SumPostDiv_u32_0_0_1v@rel32@hi+12
	s_swappc_b64 s[30:31], s[6:7]
.LBB0_110:                              ;   in Loop: Header=BB0_84 Depth=1
	s_mov_b64 s[4:5], 0
.LBB0_111:                              ;   in Loop: Header=BB0_84 Depth=1
	s_andn2_b64 vcc, exec, s[4:5]
	s_cbranch_vccnz .LBB0_119
; %bb.112:                              ;   in Loop: Header=BB0_84 Depth=1
	s_cmpk_gt_u32 s53, 0xa9
	s_mov_b64 s[4:5], -1
	s_cbranch_scc0 .LBB0_114
; %bb.113:                              ;   in Loop: Header=BB0_84 Depth=1
	s_add_u32 s8, s36, 0x1000
	s_addc_u32 s9, s37, 0
	s_mov_b64 s[4:5], s[38:39]
	s_mov_b64 s[10:11], s[34:35]
	s_mov_b32 s12, s45
	s_mov_b32 s13, s44
	;; [unrolled: 1-line block ×3, first 2 shown]
	v_mov_b32_e32 v31, v40
	s_getpc_b64 s[6:7]
	s_add_u32 s6, s6, _Z53ncclDevFunc_AllReduce_RING_SIMPLE_SumPostDiv_u8_0_0_1v@rel32@lo+4
	s_addc_u32 s7, s7, _Z53ncclDevFunc_AllReduce_RING_SIMPLE_SumPostDiv_u8_0_0_1v@rel32@hi+12
	s_swappc_b64 s[30:31], s[6:7]
	s_mov_b64 s[4:5], 0
.LBB0_114:                              ;   in Loop: Header=BB0_84 Depth=1
	s_andn2_b64 vcc, exec, s[4:5]
	s_cbranch_vccnz .LBB0_119
; %bb.115:                              ;   in Loop: Header=BB0_84 Depth=1
	s_cmpk_lg_i32 s53, 0xa7
	s_mov_b64 s[4:5], -1
	s_cbranch_scc0 .LBB0_117
; %bb.116:                              ;   in Loop: Header=BB0_84 Depth=1
	s_add_u32 s8, s36, 0x1000
	s_addc_u32 s9, s37, 0
	s_mov_b64 s[4:5], s[38:39]
	s_mov_b64 s[10:11], s[34:35]
	s_mov_b32 s12, s45
	s_mov_b32 s13, s44
	;; [unrolled: 1-line block ×3, first 2 shown]
	v_mov_b32_e32 v31, v40
	s_getpc_b64 s[6:7]
	s_add_u32 s6, s6, _Z56ncclDevFunc_AllReduce_RING_SIMPLE_PreMulSum_f8e5m2_0_0_1v@rel32@lo+4
	s_addc_u32 s7, s7, _Z56ncclDevFunc_AllReduce_RING_SIMPLE_PreMulSum_f8e5m2_0_0_1v@rel32@hi+12
	s_swappc_b64 s[30:31], s[6:7]
	s_mov_b64 s[4:5], 0
.LBB0_117:                              ;   in Loop: Header=BB0_84 Depth=1
	s_andn2_b64 vcc, exec, s[4:5]
	s_cbranch_vccnz .LBB0_119
; %bb.118:                              ;   in Loop: Header=BB0_84 Depth=1
	s_add_u32 s8, s36, 0x1000
	s_addc_u32 s9, s37, 0
	s_mov_b64 s[4:5], s[38:39]
	s_mov_b64 s[10:11], s[34:35]
	s_mov_b32 s12, s45
	s_mov_b32 s13, s44
	;; [unrolled: 1-line block ×3, first 2 shown]
	v_mov_b32_e32 v31, v40
	s_getpc_b64 s[6:7]
	s_add_u32 s6, s6, _Z56ncclDevFunc_AllReduce_RING_SIMPLE_PreMulSum_f8e4m3_0_0_1v@rel32@lo+4
	s_addc_u32 s7, s7, _Z56ncclDevFunc_AllReduce_RING_SIMPLE_PreMulSum_f8e4m3_0_0_1v@rel32@hi+12
	s_swappc_b64 s[30:31], s[6:7]
.LBB0_119:                              ;   in Loop: Header=BB0_84 Depth=1
	s_mov_b64 s[4:5], 0
.LBB0_120:                              ;   in Loop: Header=BB0_84 Depth=1
	s_andn2_b64 vcc, exec, s[4:5]
	s_cbranch_vccnz .LBB0_135
; %bb.121:                              ;   in Loop: Header=BB0_84 Depth=1
	s_cmpk_gt_u32 s53, 0xa0
	s_mov_b64 s[4:5], -1
	s_cbranch_scc0 .LBB0_130
; %bb.122:                              ;   in Loop: Header=BB0_84 Depth=1
	s_cmpk_gt_u32 s53, 0xa3
	s_cbranch_scc0 .LBB0_124
; %bb.123:                              ;   in Loop: Header=BB0_84 Depth=1
	s_add_u32 s8, s36, 0x1000
	s_addc_u32 s9, s37, 0
	s_mov_b64 s[4:5], s[38:39]
	s_mov_b64 s[10:11], s[34:35]
	s_mov_b32 s12, s45
	s_mov_b32 s13, s44
	;; [unrolled: 1-line block ×3, first 2 shown]
	v_mov_b32_e32 v31, v40
	s_getpc_b64 s[6:7]
	s_add_u32 s6, s6, _Z54ncclDevFunc_AllReduce_RING_SIMPLE_PreMulSum_bf16_0_1_1v@rel32@lo+4
	s_addc_u32 s7, s7, _Z54ncclDevFunc_AllReduce_RING_SIMPLE_PreMulSum_bf16_0_1_1v@rel32@hi+12
	s_swappc_b64 s[30:31], s[6:7]
	s_mov_b64 s[4:5], 0
.LBB0_124:                              ;   in Loop: Header=BB0_84 Depth=1
	s_andn2_b64 vcc, exec, s[4:5]
	s_cbranch_vccnz .LBB0_129
; %bb.125:                              ;   in Loop: Header=BB0_84 Depth=1
	s_cmpk_lg_i32 s53, 0xa1
	s_mov_b64 s[4:5], -1
	s_cbranch_scc0 .LBB0_127
; %bb.126:                              ;   in Loop: Header=BB0_84 Depth=1
	s_add_u32 s8, s36, 0x1000
	s_addc_u32 s9, s37, 0
	s_mov_b64 s[4:5], s[38:39]
	s_mov_b64 s[10:11], s[34:35]
	s_mov_b32 s12, s45
	s_mov_b32 s13, s44
	s_mov_b32 s14, s33
	v_mov_b32_e32 v31, v40
	s_getpc_b64 s[6:7]
	s_add_u32 s6, s6, _Z54ncclDevFunc_AllReduce_RING_SIMPLE_PreMulSum_bf16_0_0_1v@rel32@lo+4
	s_addc_u32 s7, s7, _Z54ncclDevFunc_AllReduce_RING_SIMPLE_PreMulSum_bf16_0_0_1v@rel32@hi+12
	s_swappc_b64 s[30:31], s[6:7]
	s_mov_b64 s[4:5], 0
.LBB0_127:                              ;   in Loop: Header=BB0_84 Depth=1
	s_andn2_b64 vcc, exec, s[4:5]
	s_cbranch_vccnz .LBB0_129
; %bb.128:                              ;   in Loop: Header=BB0_84 Depth=1
	s_add_u32 s8, s36, 0x1000
	s_addc_u32 s9, s37, 0
	s_mov_b64 s[4:5], s[38:39]
	s_mov_b64 s[10:11], s[34:35]
	s_mov_b32 s12, s45
	s_mov_b32 s13, s44
	;; [unrolled: 1-line block ×3, first 2 shown]
	v_mov_b32_e32 v31, v40
	s_getpc_b64 s[6:7]
	s_add_u32 s6, s6, _Z53ncclDevFunc_AllReduce_RING_SIMPLE_PreMulSum_f64_0_0_1v@rel32@lo+4
	s_addc_u32 s7, s7, _Z53ncclDevFunc_AllReduce_RING_SIMPLE_PreMulSum_f64_0_0_1v@rel32@hi+12
	s_swappc_b64 s[30:31], s[6:7]
.LBB0_129:                              ;   in Loop: Header=BB0_84 Depth=1
	s_mov_b64 s[4:5], 0
.LBB0_130:                              ;   in Loop: Header=BB0_84 Depth=1
	s_andn2_b64 vcc, exec, s[4:5]
	s_cbranch_vccnz .LBB0_135
; %bb.131:                              ;   in Loop: Header=BB0_84 Depth=1
	s_cmpk_gt_u32 s53, 0x9d
	s_mov_b64 s[4:5], -1
	s_cbranch_scc0 .LBB0_133
; %bb.132:                              ;   in Loop: Header=BB0_84 Depth=1
	s_add_u32 s8, s36, 0x1000
	s_addc_u32 s9, s37, 0
	s_mov_b64 s[4:5], s[38:39]
	s_mov_b64 s[10:11], s[34:35]
	s_mov_b32 s12, s45
	s_mov_b32 s13, s44
	;; [unrolled: 1-line block ×3, first 2 shown]
	v_mov_b32_e32 v31, v40
	s_getpc_b64 s[6:7]
	s_add_u32 s6, s6, _Z53ncclDevFunc_AllReduce_RING_SIMPLE_PreMulSum_f32_0_0_1v@rel32@lo+4
	s_addc_u32 s7, s7, _Z53ncclDevFunc_AllReduce_RING_SIMPLE_PreMulSum_f32_0_0_1v@rel32@hi+12
	s_swappc_b64 s[30:31], s[6:7]
	s_mov_b64 s[4:5], 0
.LBB0_133:                              ;   in Loop: Header=BB0_84 Depth=1
	s_andn2_b64 vcc, exec, s[4:5]
	s_cbranch_vccnz .LBB0_135
; %bb.134:                              ;   in Loop: Header=BB0_84 Depth=1
	s_add_u32 s8, s36, 0x1000
	s_addc_u32 s9, s37, 0
	s_mov_b64 s[4:5], s[38:39]
	s_mov_b64 s[10:11], s[34:35]
	s_mov_b32 s12, s45
	s_mov_b32 s13, s44
	;; [unrolled: 1-line block ×3, first 2 shown]
	v_mov_b32_e32 v31, v40
	s_getpc_b64 s[6:7]
	s_add_u32 s6, s6, _Z53ncclDevFunc_AllReduce_RING_SIMPLE_PreMulSum_f16_0_0_1v@rel32@lo+4
	s_addc_u32 s7, s7, _Z53ncclDevFunc_AllReduce_RING_SIMPLE_PreMulSum_f16_0_0_1v@rel32@hi+12
	s_swappc_b64 s[30:31], s[6:7]
.LBB0_135:                              ;   in Loop: Header=BB0_84 Depth=1
	s_mov_b64 s[4:5], 0
.LBB0_136:                              ;   in Loop: Header=BB0_84 Depth=1
	s_andn2_b64 vcc, exec, s[4:5]
	s_cbranch_vccnz .LBB0_173
; %bb.137:                              ;   in Loop: Header=BB0_84 Depth=1
	s_cmpk_gt_u32 s53, 0x90
	s_mov_b64 s[4:5], -1
	s_cbranch_scc0 .LBB0_154
; %bb.138:                              ;   in Loop: Header=BB0_84 Depth=1
	s_cmpk_gt_u32 s53, 0x95
	s_cbranch_scc0 .LBB0_148
; %bb.139:                              ;   in Loop: Header=BB0_84 Depth=1
	s_cmpk_gt_u32 s53, 0x98
	s_cbranch_scc0 .LBB0_145
; %bb.140:                              ;   in Loop: Header=BB0_84 Depth=1
	s_cmpk_lg_i32 s53, 0x99
	s_cbranch_scc0 .LBB0_142
; %bb.141:                              ;   in Loop: Header=BB0_84 Depth=1
	s_add_u32 s8, s36, 0x1000
	s_addc_u32 s9, s37, 0
	s_mov_b64 s[4:5], s[38:39]
	s_mov_b64 s[10:11], s[34:35]
	s_mov_b32 s12, s45
	s_mov_b32 s13, s44
	;; [unrolled: 1-line block ×3, first 2 shown]
	v_mov_b32_e32 v31, v40
	s_getpc_b64 s[6:7]
	s_add_u32 s6, s6, _Z53ncclDevFunc_AllReduce_RING_SIMPLE_PreMulSum_u64_0_0_1v@rel32@lo+4
	s_addc_u32 s7, s7, _Z53ncclDevFunc_AllReduce_RING_SIMPLE_PreMulSum_u64_0_0_1v@rel32@hi+12
	s_swappc_b64 s[30:31], s[6:7]
	s_mov_b64 s[4:5], 0
.LBB0_142:                              ;   in Loop: Header=BB0_84 Depth=1
	s_andn2_b64 vcc, exec, s[4:5]
	s_cbranch_vccnz .LBB0_144
; %bb.143:                              ;   in Loop: Header=BB0_84 Depth=1
	s_add_u32 s8, s36, 0x1000
	s_addc_u32 s9, s37, 0
	s_mov_b64 s[4:5], s[38:39]
	s_mov_b64 s[10:11], s[34:35]
	s_mov_b32 s12, s45
	s_mov_b32 s13, s44
	;; [unrolled: 1-line block ×3, first 2 shown]
	v_mov_b32_e32 v31, v40
	s_getpc_b64 s[6:7]
	s_add_u32 s6, s6, _Z53ncclDevFunc_AllReduce_RING_SIMPLE_PreMulSum_u32_0_0_1v@rel32@lo+4
	s_addc_u32 s7, s7, _Z53ncclDevFunc_AllReduce_RING_SIMPLE_PreMulSum_u32_0_0_1v@rel32@hi+12
	s_swappc_b64 s[30:31], s[6:7]
.LBB0_144:                              ;   in Loop: Header=BB0_84 Depth=1
	s_mov_b64 s[4:5], 0
.LBB0_145:                              ;   in Loop: Header=BB0_84 Depth=1
	s_andn2_b64 vcc, exec, s[4:5]
	s_cbranch_vccnz .LBB0_147
; %bb.146:                              ;   in Loop: Header=BB0_84 Depth=1
	s_add_u32 s8, s36, 0x1000
	s_addc_u32 s9, s37, 0
	s_mov_b64 s[4:5], s[38:39]
	s_mov_b64 s[10:11], s[34:35]
	s_mov_b32 s12, s45
	s_mov_b32 s13, s44
	;; [unrolled: 1-line block ×3, first 2 shown]
	v_mov_b32_e32 v31, v40
	s_getpc_b64 s[6:7]
	s_add_u32 s6, s6, _Z52ncclDevFunc_AllReduce_RING_SIMPLE_PreMulSum_u8_0_0_1v@rel32@lo+4
	s_addc_u32 s7, s7, _Z52ncclDevFunc_AllReduce_RING_SIMPLE_PreMulSum_u8_0_0_1v@rel32@hi+12
	s_swappc_b64 s[30:31], s[6:7]
.LBB0_147:                              ;   in Loop: Header=BB0_84 Depth=1
	s_mov_b64 s[4:5], 0
.LBB0_148:                              ;   in Loop: Header=BB0_84 Depth=1
	s_andn2_b64 vcc, exec, s[4:5]
	s_cbranch_vccnz .LBB0_153
; %bb.149:                              ;   in Loop: Header=BB0_84 Depth=1
	s_cmpk_gt_u32 s53, 0x93
	s_mov_b64 s[4:5], -1
	s_cbranch_scc0 .LBB0_151
; %bb.150:                              ;   in Loop: Header=BB0_84 Depth=1
	s_add_u32 s8, s36, 0x1000
	s_addc_u32 s9, s37, 0
	s_mov_b64 s[4:5], s[38:39]
	s_mov_b64 s[10:11], s[34:35]
	s_mov_b32 s12, s45
	s_mov_b32 s13, s44
	;; [unrolled: 1-line block ×3, first 2 shown]
	v_mov_b32_e32 v31, v40
	s_getpc_b64 s[6:7]
	s_add_u32 s6, s6, _Z53ncclDevFunc_AllReduce_RING_SIMPLE_MinMax_f8e5m2_0_0_1v@rel32@lo+4
	s_addc_u32 s7, s7, _Z53ncclDevFunc_AllReduce_RING_SIMPLE_MinMax_f8e5m2_0_0_1v@rel32@hi+12
	s_swappc_b64 s[30:31], s[6:7]
	s_mov_b64 s[4:5], 0
.LBB0_151:                              ;   in Loop: Header=BB0_84 Depth=1
	s_andn2_b64 vcc, exec, s[4:5]
	s_cbranch_vccnz .LBB0_153
; %bb.152:                              ;   in Loop: Header=BB0_84 Depth=1
	s_add_u32 s8, s36, 0x1000
	s_addc_u32 s9, s37, 0
	s_mov_b64 s[4:5], s[38:39]
	s_mov_b64 s[10:11], s[34:35]
	s_mov_b32 s12, s45
	s_mov_b32 s13, s44
	;; [unrolled: 1-line block ×3, first 2 shown]
	v_mov_b32_e32 v31, v40
	s_getpc_b64 s[6:7]
	s_add_u32 s6, s6, _Z53ncclDevFunc_AllReduce_RING_SIMPLE_MinMax_f8e4m3_0_0_1v@rel32@lo+4
	s_addc_u32 s7, s7, _Z53ncclDevFunc_AllReduce_RING_SIMPLE_MinMax_f8e4m3_0_0_1v@rel32@hi+12
	s_swappc_b64 s[30:31], s[6:7]
.LBB0_153:                              ;   in Loop: Header=BB0_84 Depth=1
	s_mov_b64 s[4:5], 0
.LBB0_154:                              ;   in Loop: Header=BB0_84 Depth=1
	s_andn2_b64 vcc, exec, s[4:5]
	s_cbranch_vccnz .LBB0_173
; %bb.155:                              ;   in Loop: Header=BB0_84 Depth=1
	s_cmpk_gt_u32 s53, 0x8a
	s_mov_b64 s[4:5], -1
	s_cbranch_scc0 .LBB0_168
; %bb.156:                              ;   in Loop: Header=BB0_84 Depth=1
	s_cmpk_gt_u32 s53, 0x8d
	s_cbranch_scc0 .LBB0_162
; %bb.157:                              ;   in Loop: Header=BB0_84 Depth=1
	s_cmpk_eq_i32 s53, 0x90
	s_cbranch_scc1 .LBB0_159
; %bb.158:                              ;   in Loop: Header=BB0_84 Depth=1
	s_add_u32 s8, s36, 0x1000
	s_addc_u32 s9, s37, 0
	s_mov_b64 s[4:5], s[38:39]
	s_mov_b64 s[10:11], s[34:35]
	s_mov_b32 s12, s45
	s_mov_b32 s13, s44
	;; [unrolled: 1-line block ×3, first 2 shown]
	v_mov_b32_e32 v31, v40
	s_getpc_b64 s[6:7]
	s_add_u32 s6, s6, _Z51ncclDevFunc_AllReduce_RING_SIMPLE_MinMax_bf16_0_0_1v@rel32@lo+4
	s_addc_u32 s7, s7, _Z51ncclDevFunc_AllReduce_RING_SIMPLE_MinMax_bf16_0_0_1v@rel32@hi+12
	s_swappc_b64 s[30:31], s[6:7]
	s_mov_b64 s[4:5], 0
.LBB0_159:                              ;   in Loop: Header=BB0_84 Depth=1
	s_andn2_b64 vcc, exec, s[4:5]
	s_cbranch_vccnz .LBB0_161
; %bb.160:                              ;   in Loop: Header=BB0_84 Depth=1
	s_add_u32 s8, s36, 0x1000
	s_addc_u32 s9, s37, 0
	s_mov_b64 s[4:5], s[38:39]
	s_mov_b64 s[10:11], s[34:35]
	s_mov_b32 s12, s45
	s_mov_b32 s13, s44
	s_mov_b32 s14, s33
	v_mov_b32_e32 v31, v40
	s_getpc_b64 s[6:7]
	s_add_u32 s6, s6, _Z51ncclDevFunc_AllReduce_RING_SIMPLE_MinMax_bf16_0_1_1v@rel32@lo+4
	s_addc_u32 s7, s7, _Z51ncclDevFunc_AllReduce_RING_SIMPLE_MinMax_bf16_0_1_1v@rel32@hi+12
	s_swappc_b64 s[30:31], s[6:7]
.LBB0_161:                              ;   in Loop: Header=BB0_84 Depth=1
	s_mov_b64 s[4:5], 0
.LBB0_162:                              ;   in Loop: Header=BB0_84 Depth=1
	s_andn2_b64 vcc, exec, s[4:5]
	s_cbranch_vccnz .LBB0_167
; %bb.163:                              ;   in Loop: Header=BB0_84 Depth=1
	s_cmpk_lg_i32 s53, 0x8b
	s_mov_b64 s[4:5], -1
	s_cbranch_scc0 .LBB0_165
; %bb.164:                              ;   in Loop: Header=BB0_84 Depth=1
	s_add_u32 s8, s36, 0x1000
	s_addc_u32 s9, s37, 0
	s_mov_b64 s[4:5], s[38:39]
	s_mov_b64 s[10:11], s[34:35]
	s_mov_b32 s12, s45
	s_mov_b32 s13, s44
	;; [unrolled: 1-line block ×3, first 2 shown]
	v_mov_b32_e32 v31, v40
	s_getpc_b64 s[6:7]
	s_add_u32 s6, s6, _Z50ncclDevFunc_AllReduce_RING_SIMPLE_MinMax_f64_0_0_1v@rel32@lo+4
	s_addc_u32 s7, s7, _Z50ncclDevFunc_AllReduce_RING_SIMPLE_MinMax_f64_0_0_1v@rel32@hi+12
	s_swappc_b64 s[30:31], s[6:7]
	s_mov_b64 s[4:5], 0
.LBB0_165:                              ;   in Loop: Header=BB0_84 Depth=1
	s_andn2_b64 vcc, exec, s[4:5]
	s_cbranch_vccnz .LBB0_167
; %bb.166:                              ;   in Loop: Header=BB0_84 Depth=1
	s_add_u32 s8, s36, 0x1000
	s_addc_u32 s9, s37, 0
	s_mov_b64 s[4:5], s[38:39]
	s_mov_b64 s[10:11], s[34:35]
	s_mov_b32 s12, s45
	s_mov_b32 s13, s44
	;; [unrolled: 1-line block ×3, first 2 shown]
	v_mov_b32_e32 v31, v40
	s_getpc_b64 s[6:7]
	s_add_u32 s6, s6, _Z50ncclDevFunc_AllReduce_RING_SIMPLE_MinMax_f32_0_0_1v@rel32@lo+4
	s_addc_u32 s7, s7, _Z50ncclDevFunc_AllReduce_RING_SIMPLE_MinMax_f32_0_0_1v@rel32@hi+12
	s_swappc_b64 s[30:31], s[6:7]
.LBB0_167:                              ;   in Loop: Header=BB0_84 Depth=1
	s_mov_b64 s[4:5], 0
.LBB0_168:                              ;   in Loop: Header=BB0_84 Depth=1
	s_andn2_b64 vcc, exec, s[4:5]
	s_cbranch_vccnz .LBB0_173
; %bb.169:                              ;   in Loop: Header=BB0_84 Depth=1
	s_cmpk_gt_u32 s53, 0x87
	s_mov_b64 s[4:5], -1
	s_cbranch_scc0 .LBB0_171
; %bb.170:                              ;   in Loop: Header=BB0_84 Depth=1
	s_add_u32 s8, s36, 0x1000
	s_addc_u32 s9, s37, 0
	s_mov_b64 s[4:5], s[38:39]
	s_mov_b64 s[10:11], s[34:35]
	s_mov_b32 s12, s45
	s_mov_b32 s13, s44
	;; [unrolled: 1-line block ×3, first 2 shown]
	v_mov_b32_e32 v31, v40
	s_getpc_b64 s[6:7]
	s_add_u32 s6, s6, _Z50ncclDevFunc_AllReduce_RING_SIMPLE_MinMax_f16_0_0_1v@rel32@lo+4
	s_addc_u32 s7, s7, _Z50ncclDevFunc_AllReduce_RING_SIMPLE_MinMax_f16_0_0_1v@rel32@hi+12
	s_swappc_b64 s[30:31], s[6:7]
	s_mov_b64 s[4:5], 0
.LBB0_171:                              ;   in Loop: Header=BB0_84 Depth=1
	s_andn2_b64 vcc, exec, s[4:5]
	s_cbranch_vccnz .LBB0_173
; %bb.172:                              ;   in Loop: Header=BB0_84 Depth=1
	s_add_u32 s8, s36, 0x1000
	s_addc_u32 s9, s37, 0
	s_mov_b64 s[4:5], s[38:39]
	s_mov_b64 s[10:11], s[34:35]
	s_mov_b32 s12, s45
	s_mov_b32 s13, s44
	;; [unrolled: 1-line block ×3, first 2 shown]
	v_mov_b32_e32 v31, v40
	s_getpc_b64 s[6:7]
	s_add_u32 s6, s6, _Z50ncclDevFunc_AllReduce_RING_SIMPLE_MinMax_u64_0_0_1v@rel32@lo+4
	s_addc_u32 s7, s7, _Z50ncclDevFunc_AllReduce_RING_SIMPLE_MinMax_u64_0_0_1v@rel32@hi+12
	s_swappc_b64 s[30:31], s[6:7]
.LBB0_173:                              ;   in Loop: Header=BB0_84 Depth=1
	s_mov_b64 s[4:5], 0
.LBB0_174:                              ;   in Loop: Header=BB0_84 Depth=1
	s_andn2_b64 vcc, exec, s[4:5]
	s_cbranch_vccnz .LBB0_258
; %bb.175:                              ;   in Loop: Header=BB0_84 Depth=1
	s_cmpk_gt_u32 s53, 0x6e
	s_mov_b64 s[4:5], -1
	s_cbranch_scc0 .LBB0_217
; %bb.176:                              ;   in Loop: Header=BB0_84 Depth=1
	s_cmpk_gt_u32 s53, 0x79
	s_cbranch_scc0 .LBB0_196
; %bb.177:                              ;   in Loop: Header=BB0_84 Depth=1
	s_cmpk_gt_u32 s53, 0x7f
	;; [unrolled: 3-line block ×3, first 2 shown]
	s_cbranch_scc0 .LBB0_184
; %bb.179:                              ;   in Loop: Header=BB0_84 Depth=1
	s_cmpk_lg_i32 s53, 0x83
	s_cbranch_scc0 .LBB0_181
; %bb.180:                              ;   in Loop: Header=BB0_84 Depth=1
	s_add_u32 s8, s36, 0x1000
	s_addc_u32 s9, s37, 0
	s_mov_b64 s[4:5], s[38:39]
	s_mov_b64 s[10:11], s[34:35]
	s_mov_b32 s12, s45
	s_mov_b32 s13, s44
	;; [unrolled: 1-line block ×3, first 2 shown]
	v_mov_b32_e32 v31, v40
	s_getpc_b64 s[6:7]
	s_add_u32 s6, s6, _Z50ncclDevFunc_AllReduce_RING_SIMPLE_MinMax_u32_0_0_1v@rel32@lo+4
	s_addc_u32 s7, s7, _Z50ncclDevFunc_AllReduce_RING_SIMPLE_MinMax_u32_0_0_1v@rel32@hi+12
	s_swappc_b64 s[30:31], s[6:7]
	s_mov_b64 s[4:5], 0
.LBB0_181:                              ;   in Loop: Header=BB0_84 Depth=1
	s_andn2_b64 vcc, exec, s[4:5]
	s_cbranch_vccnz .LBB0_183
; %bb.182:                              ;   in Loop: Header=BB0_84 Depth=1
	s_add_u32 s8, s36, 0x1000
	s_addc_u32 s9, s37, 0
	s_mov_b64 s[4:5], s[38:39]
	s_mov_b64 s[10:11], s[34:35]
	s_mov_b32 s12, s45
	s_mov_b32 s13, s44
	;; [unrolled: 1-line block ×3, first 2 shown]
	v_mov_b32_e32 v31, v40
	s_getpc_b64 s[6:7]
	s_add_u32 s6, s6, _Z49ncclDevFunc_AllReduce_RING_SIMPLE_MinMax_u8_0_0_1v@rel32@lo+4
	s_addc_u32 s7, s7, _Z49ncclDevFunc_AllReduce_RING_SIMPLE_MinMax_u8_0_0_1v@rel32@hi+12
	s_swappc_b64 s[30:31], s[6:7]
.LBB0_183:                              ;   in Loop: Header=BB0_84 Depth=1
	s_mov_b64 s[4:5], 0
.LBB0_184:                              ;   in Loop: Header=BB0_84 Depth=1
	s_andn2_b64 vcc, exec, s[4:5]
	s_cbranch_vccnz .LBB0_186
; %bb.185:                              ;   in Loop: Header=BB0_84 Depth=1
	s_add_u32 s8, s36, 0x1000
	s_addc_u32 s9, s37, 0
	s_mov_b64 s[4:5], s[38:39]
	s_mov_b64 s[10:11], s[34:35]
	s_mov_b32 s12, s45
	s_mov_b32 s13, s44
	;; [unrolled: 1-line block ×3, first 2 shown]
	v_mov_b32_e32 v31, v40
	s_getpc_b64 s[6:7]
	s_add_u32 s6, s6, _Z51ncclDevFunc_AllReduce_RING_SIMPLE_Prod_f8e5m2_0_0_1v@rel32@lo+4
	s_addc_u32 s7, s7, _Z51ncclDevFunc_AllReduce_RING_SIMPLE_Prod_f8e5m2_0_0_1v@rel32@hi+12
	s_swappc_b64 s[30:31], s[6:7]
.LBB0_186:                              ;   in Loop: Header=BB0_84 Depth=1
	s_mov_b64 s[4:5], 0
.LBB0_187:                              ;   in Loop: Header=BB0_84 Depth=1
	s_andn2_b64 vcc, exec, s[4:5]
	s_cbranch_vccnz .LBB0_195
; %bb.188:                              ;   in Loop: Header=BB0_84 Depth=1
	s_cmpk_gt_u32 s53, 0x7c
	s_mov_b64 s[4:5], -1
	s_cbranch_scc0 .LBB0_190
; %bb.189:                              ;   in Loop: Header=BB0_84 Depth=1
	s_add_u32 s8, s36, 0x1000
	s_addc_u32 s9, s37, 0
	s_mov_b64 s[4:5], s[38:39]
	s_mov_b64 s[10:11], s[34:35]
	s_mov_b32 s12, s45
	s_mov_b32 s13, s44
	;; [unrolled: 1-line block ×3, first 2 shown]
	v_mov_b32_e32 v31, v40
	s_getpc_b64 s[6:7]
	s_add_u32 s6, s6, _Z51ncclDevFunc_AllReduce_RING_SIMPLE_Prod_f8e4m3_0_0_1v@rel32@lo+4
	s_addc_u32 s7, s7, _Z51ncclDevFunc_AllReduce_RING_SIMPLE_Prod_f8e4m3_0_0_1v@rel32@hi+12
	s_swappc_b64 s[30:31], s[6:7]
	s_mov_b64 s[4:5], 0
.LBB0_190:                              ;   in Loop: Header=BB0_84 Depth=1
	s_andn2_b64 vcc, exec, s[4:5]
	s_cbranch_vccnz .LBB0_195
; %bb.191:                              ;   in Loop: Header=BB0_84 Depth=1
	s_cmpk_eq_i32 s53, 0x7c
	s_mov_b64 s[4:5], -1
	s_cbranch_scc1 .LBB0_193
; %bb.192:                              ;   in Loop: Header=BB0_84 Depth=1
	s_add_u32 s8, s36, 0x1000
	s_addc_u32 s9, s37, 0
	s_mov_b64 s[4:5], s[38:39]
	s_mov_b64 s[10:11], s[34:35]
	s_mov_b32 s12, s45
	s_mov_b32 s13, s44
	;; [unrolled: 1-line block ×3, first 2 shown]
	v_mov_b32_e32 v31, v40
	s_getpc_b64 s[6:7]
	s_add_u32 s6, s6, _Z49ncclDevFunc_AllReduce_RING_SIMPLE_Prod_bf16_0_0_1v@rel32@lo+4
	s_addc_u32 s7, s7, _Z49ncclDevFunc_AllReduce_RING_SIMPLE_Prod_bf16_0_0_1v@rel32@hi+12
	s_swappc_b64 s[30:31], s[6:7]
	s_mov_b64 s[4:5], 0
.LBB0_193:                              ;   in Loop: Header=BB0_84 Depth=1
	s_andn2_b64 vcc, exec, s[4:5]
	s_cbranch_vccnz .LBB0_195
; %bb.194:                              ;   in Loop: Header=BB0_84 Depth=1
	s_add_u32 s8, s36, 0x1000
	s_addc_u32 s9, s37, 0
	s_mov_b64 s[4:5], s[38:39]
	s_mov_b64 s[10:11], s[34:35]
	s_mov_b32 s12, s45
	s_mov_b32 s13, s44
	;; [unrolled: 1-line block ×3, first 2 shown]
	v_mov_b32_e32 v31, v40
	s_getpc_b64 s[6:7]
	s_add_u32 s6, s6, _Z49ncclDevFunc_AllReduce_RING_SIMPLE_Prod_bf16_0_1_1v@rel32@lo+4
	s_addc_u32 s7, s7, _Z49ncclDevFunc_AllReduce_RING_SIMPLE_Prod_bf16_0_1_1v@rel32@hi+12
	s_swappc_b64 s[30:31], s[6:7]
.LBB0_195:                              ;   in Loop: Header=BB0_84 Depth=1
	s_mov_b64 s[4:5], 0
.LBB0_196:                              ;   in Loop: Header=BB0_84 Depth=1
	s_andn2_b64 vcc, exec, s[4:5]
	s_cbranch_vccnz .LBB0_216
; %bb.197:                              ;   in Loop: Header=BB0_84 Depth=1
	s_cmpk_gt_u32 s53, 0x73
	s_mov_b64 s[4:5], -1
	s_cbranch_scc0 .LBB0_207
; %bb.198:                              ;   in Loop: Header=BB0_84 Depth=1
	s_cmpk_gt_u32 s53, 0x76
	s_cbranch_scc0 .LBB0_204
; %bb.199:                              ;   in Loop: Header=BB0_84 Depth=1
	s_cmpk_lg_i32 s53, 0x77
	s_cbranch_scc0 .LBB0_201
; %bb.200:                              ;   in Loop: Header=BB0_84 Depth=1
	s_add_u32 s8, s36, 0x1000
	s_addc_u32 s9, s37, 0
	s_mov_b64 s[4:5], s[38:39]
	s_mov_b64 s[10:11], s[34:35]
	s_mov_b32 s12, s45
	s_mov_b32 s13, s44
	;; [unrolled: 1-line block ×3, first 2 shown]
	v_mov_b32_e32 v31, v40
	s_getpc_b64 s[6:7]
	s_add_u32 s6, s6, _Z48ncclDevFunc_AllReduce_RING_SIMPLE_Prod_f64_0_0_1v@rel32@lo+4
	s_addc_u32 s7, s7, _Z48ncclDevFunc_AllReduce_RING_SIMPLE_Prod_f64_0_0_1v@rel32@hi+12
	s_swappc_b64 s[30:31], s[6:7]
	s_mov_b64 s[4:5], 0
.LBB0_201:                              ;   in Loop: Header=BB0_84 Depth=1
	s_andn2_b64 vcc, exec, s[4:5]
	s_cbranch_vccnz .LBB0_203
; %bb.202:                              ;   in Loop: Header=BB0_84 Depth=1
	s_add_u32 s8, s36, 0x1000
	s_addc_u32 s9, s37, 0
	s_mov_b64 s[4:5], s[38:39]
	s_mov_b64 s[10:11], s[34:35]
	s_mov_b32 s12, s45
	s_mov_b32 s13, s44
	;; [unrolled: 1-line block ×3, first 2 shown]
	v_mov_b32_e32 v31, v40
	s_getpc_b64 s[6:7]
	s_add_u32 s6, s6, _Z48ncclDevFunc_AllReduce_RING_SIMPLE_Prod_f32_0_0_1v@rel32@lo+4
	s_addc_u32 s7, s7, _Z48ncclDevFunc_AllReduce_RING_SIMPLE_Prod_f32_0_0_1v@rel32@hi+12
	s_swappc_b64 s[30:31], s[6:7]
.LBB0_203:                              ;   in Loop: Header=BB0_84 Depth=1
	s_mov_b64 s[4:5], 0
.LBB0_204:                              ;   in Loop: Header=BB0_84 Depth=1
	s_andn2_b64 vcc, exec, s[4:5]
	s_cbranch_vccnz .LBB0_206
; %bb.205:                              ;   in Loop: Header=BB0_84 Depth=1
	s_add_u32 s8, s36, 0x1000
	s_addc_u32 s9, s37, 0
	s_mov_b64 s[4:5], s[38:39]
	s_mov_b64 s[10:11], s[34:35]
	s_mov_b32 s12, s45
	s_mov_b32 s13, s44
	;; [unrolled: 1-line block ×3, first 2 shown]
	v_mov_b32_e32 v31, v40
	s_getpc_b64 s[6:7]
	s_add_u32 s6, s6, _Z48ncclDevFunc_AllReduce_RING_SIMPLE_Prod_f16_0_0_1v@rel32@lo+4
	s_addc_u32 s7, s7, _Z48ncclDevFunc_AllReduce_RING_SIMPLE_Prod_f16_0_0_1v@rel32@hi+12
	s_swappc_b64 s[30:31], s[6:7]
.LBB0_206:                              ;   in Loop: Header=BB0_84 Depth=1
	s_mov_b64 s[4:5], 0
.LBB0_207:                              ;   in Loop: Header=BB0_84 Depth=1
	s_andn2_b64 vcc, exec, s[4:5]
	s_cbranch_vccnz .LBB0_216
; %bb.208:                              ;   in Loop: Header=BB0_84 Depth=1
	s_cmpk_gt_u32 s53, 0x70
	s_mov_b64 s[4:5], -1
	s_cbranch_scc0 .LBB0_214
; %bb.209:                              ;   in Loop: Header=BB0_84 Depth=1
	s_cmpk_lg_i32 s53, 0x71
	s_cbranch_scc0 .LBB0_211
; %bb.210:                              ;   in Loop: Header=BB0_84 Depth=1
	s_add_u32 s8, s36, 0x1000
	s_addc_u32 s9, s37, 0
	s_mov_b64 s[4:5], s[38:39]
	s_mov_b64 s[10:11], s[34:35]
	s_mov_b32 s12, s45
	s_mov_b32 s13, s44
	;; [unrolled: 1-line block ×3, first 2 shown]
	v_mov_b32_e32 v31, v40
	s_getpc_b64 s[6:7]
	s_add_u32 s6, s6, _Z48ncclDevFunc_AllReduce_RING_SIMPLE_Prod_u64_0_0_1v@rel32@lo+4
	s_addc_u32 s7, s7, _Z48ncclDevFunc_AllReduce_RING_SIMPLE_Prod_u64_0_0_1v@rel32@hi+12
	s_swappc_b64 s[30:31], s[6:7]
	s_mov_b64 s[4:5], 0
.LBB0_211:                              ;   in Loop: Header=BB0_84 Depth=1
	s_andn2_b64 vcc, exec, s[4:5]
	s_cbranch_vccnz .LBB0_213
; %bb.212:                              ;   in Loop: Header=BB0_84 Depth=1
	s_add_u32 s8, s36, 0x1000
	s_addc_u32 s9, s37, 0
	s_mov_b64 s[4:5], s[38:39]
	s_mov_b64 s[10:11], s[34:35]
	s_mov_b32 s12, s45
	s_mov_b32 s13, s44
	;; [unrolled: 1-line block ×3, first 2 shown]
	v_mov_b32_e32 v31, v40
	s_getpc_b64 s[6:7]
	s_add_u32 s6, s6, _Z48ncclDevFunc_AllReduce_RING_SIMPLE_Prod_u32_0_0_1v@rel32@lo+4
	s_addc_u32 s7, s7, _Z48ncclDevFunc_AllReduce_RING_SIMPLE_Prod_u32_0_0_1v@rel32@hi+12
	s_swappc_b64 s[30:31], s[6:7]
.LBB0_213:                              ;   in Loop: Header=BB0_84 Depth=1
	s_mov_b64 s[4:5], 0
.LBB0_214:                              ;   in Loop: Header=BB0_84 Depth=1
	s_andn2_b64 vcc, exec, s[4:5]
	s_cbranch_vccnz .LBB0_216
; %bb.215:                              ;   in Loop: Header=BB0_84 Depth=1
	s_add_u32 s8, s36, 0x1000
	s_addc_u32 s9, s37, 0
	s_mov_b64 s[4:5], s[38:39]
	s_mov_b64 s[10:11], s[34:35]
	s_mov_b32 s12, s45
	s_mov_b32 s13, s44
	;; [unrolled: 1-line block ×3, first 2 shown]
	v_mov_b32_e32 v31, v40
	s_getpc_b64 s[6:7]
	s_add_u32 s6, s6, _Z47ncclDevFunc_AllReduce_RING_SIMPLE_Prod_u8_0_0_1v@rel32@lo+4
	s_addc_u32 s7, s7, _Z47ncclDevFunc_AllReduce_RING_SIMPLE_Prod_u8_0_0_1v@rel32@hi+12
	s_swappc_b64 s[30:31], s[6:7]
.LBB0_216:                              ;   in Loop: Header=BB0_84 Depth=1
	s_mov_b64 s[4:5], 0
.LBB0_217:                              ;   in Loop: Header=BB0_84 Depth=1
	s_andn2_b64 vcc, exec, s[4:5]
	s_cbranch_vccnz .LBB0_258
; %bb.218:                              ;   in Loop: Header=BB0_84 Depth=1
	s_cmpk_gt_u32 s53, 0x63
	s_mov_b64 s[4:5], -1
	s_cbranch_scc0 .LBB0_235
; %bb.219:                              ;   in Loop: Header=BB0_84 Depth=1
	s_cmpk_gt_u32 s53, 0x68
	s_cbranch_scc0 .LBB0_225
; %bb.220:                              ;   in Loop: Header=BB0_84 Depth=1
	s_cmpk_gt_u32 s53, 0x6b
	s_cbranch_scc0 .LBB0_222
; %bb.221:                              ;   in Loop: Header=BB0_84 Depth=1
	s_add_u32 s8, s36, 0x1000
	s_addc_u32 s9, s37, 0
	s_mov_b64 s[4:5], s[38:39]
	s_mov_b64 s[10:11], s[34:35]
	s_mov_b32 s12, s45
	s_mov_b32 s13, s44
	;; [unrolled: 1-line block ×3, first 2 shown]
	v_mov_b32_e32 v31, v40
	s_getpc_b64 s[6:7]
	s_add_u32 s6, s6, _Z50ncclDevFunc_AllReduce_RING_SIMPLE_Sum_f8e5m2_0_0_1v@rel32@lo+4
	s_addc_u32 s7, s7, _Z50ncclDevFunc_AllReduce_RING_SIMPLE_Sum_f8e5m2_0_0_1v@rel32@hi+12
	s_swappc_b64 s[30:31], s[6:7]
	s_mov_b64 s[4:5], 0
.LBB0_222:                              ;   in Loop: Header=BB0_84 Depth=1
	s_andn2_b64 vcc, exec, s[4:5]
	s_cbranch_vccnz .LBB0_224
; %bb.223:                              ;   in Loop: Header=BB0_84 Depth=1
	s_add_u32 s8, s36, 0x1000
	s_addc_u32 s9, s37, 0
	s_mov_b64 s[4:5], s[38:39]
	s_mov_b64 s[10:11], s[34:35]
	s_mov_b32 s12, s45
	s_mov_b32 s13, s44
	;; [unrolled: 1-line block ×3, first 2 shown]
	v_mov_b32_e32 v31, v40
	s_getpc_b64 s[6:7]
	s_add_u32 s6, s6, _Z50ncclDevFunc_AllReduce_RING_SIMPLE_Sum_f8e4m3_0_0_1v@rel32@lo+4
	s_addc_u32 s7, s7, _Z50ncclDevFunc_AllReduce_RING_SIMPLE_Sum_f8e4m3_0_0_1v@rel32@hi+12
	s_swappc_b64 s[30:31], s[6:7]
.LBB0_224:                              ;   in Loop: Header=BB0_84 Depth=1
	s_mov_b64 s[4:5], 0
.LBB0_225:                              ;   in Loop: Header=BB0_84 Depth=1
	s_andn2_b64 vcc, exec, s[4:5]
	s_cbranch_vccnz .LBB0_234
; %bb.226:                              ;   in Loop: Header=BB0_84 Depth=1
	s_cmpk_gt_u32 s53, 0x65
	s_mov_b64 s[4:5], -1
	s_cbranch_scc0 .LBB0_232
; %bb.227:                              ;   in Loop: Header=BB0_84 Depth=1
	s_cmpk_eq_i32 s53, 0x68
	s_cbranch_scc1 .LBB0_229
; %bb.228:                              ;   in Loop: Header=BB0_84 Depth=1
	s_add_u32 s8, s36, 0x1000
	s_addc_u32 s9, s37, 0
	s_mov_b64 s[4:5], s[38:39]
	s_mov_b64 s[10:11], s[34:35]
	s_mov_b32 s12, s45
	s_mov_b32 s13, s44
	;; [unrolled: 1-line block ×3, first 2 shown]
	v_mov_b32_e32 v31, v40
	s_getpc_b64 s[6:7]
	s_add_u32 s6, s6, _Z48ncclDevFunc_AllReduce_RING_SIMPLE_Sum_bf16_0_0_1v@rel32@lo+4
	s_addc_u32 s7, s7, _Z48ncclDevFunc_AllReduce_RING_SIMPLE_Sum_bf16_0_0_1v@rel32@hi+12
	s_swappc_b64 s[30:31], s[6:7]
	s_mov_b64 s[4:5], 0
.LBB0_229:                              ;   in Loop: Header=BB0_84 Depth=1
	s_andn2_b64 vcc, exec, s[4:5]
	s_cbranch_vccnz .LBB0_231
; %bb.230:                              ;   in Loop: Header=BB0_84 Depth=1
	s_add_u32 s8, s36, 0x1000
	s_addc_u32 s9, s37, 0
	s_mov_b64 s[4:5], s[38:39]
	s_mov_b64 s[10:11], s[34:35]
	s_mov_b32 s12, s45
	s_mov_b32 s13, s44
	;; [unrolled: 1-line block ×3, first 2 shown]
	v_mov_b32_e32 v31, v40
	s_getpc_b64 s[6:7]
	s_add_u32 s6, s6, _Z48ncclDevFunc_AllReduce_RING_SIMPLE_Sum_bf16_0_1_1v@rel32@lo+4
	s_addc_u32 s7, s7, _Z48ncclDevFunc_AllReduce_RING_SIMPLE_Sum_bf16_0_1_1v@rel32@hi+12
	s_swappc_b64 s[30:31], s[6:7]
.LBB0_231:                              ;   in Loop: Header=BB0_84 Depth=1
	s_mov_b64 s[4:5], 0
.LBB0_232:                              ;   in Loop: Header=BB0_84 Depth=1
	s_andn2_b64 vcc, exec, s[4:5]
	s_cbranch_vccnz .LBB0_234
; %bb.233:                              ;   in Loop: Header=BB0_84 Depth=1
	s_add_u32 s8, s36, 0x1000
	s_addc_u32 s9, s37, 0
	s_mov_b64 s[4:5], s[38:39]
	s_mov_b64 s[10:11], s[34:35]
	s_mov_b32 s12, s45
	s_mov_b32 s13, s44
	s_mov_b32 s14, s33
	v_mov_b32_e32 v31, v40
	s_getpc_b64 s[6:7]
	s_add_u32 s6, s6, _Z47ncclDevFunc_AllReduce_RING_SIMPLE_Sum_f64_0_0_1v@rel32@lo+4
	s_addc_u32 s7, s7, _Z47ncclDevFunc_AllReduce_RING_SIMPLE_Sum_f64_0_0_1v@rel32@hi+12
	s_swappc_b64 s[30:31], s[6:7]
.LBB0_234:                              ;   in Loop: Header=BB0_84 Depth=1
	s_mov_b64 s[4:5], 0
.LBB0_235:                              ;   in Loop: Header=BB0_84 Depth=1
	s_andn2_b64 vcc, exec, s[4:5]
	s_cbranch_vccnz .LBB0_258
; %bb.236:                              ;   in Loop: Header=BB0_84 Depth=1
	s_cmpk_gt_u32 s53, 0x5d
	s_mov_b64 s[4:5], -1
	s_cbranch_scc0 .LBB0_246
; %bb.237:                              ;   in Loop: Header=BB0_84 Depth=1
	s_cmpk_gt_u32 s53, 0x60
	s_cbranch_scc0 .LBB0_243
; %bb.238:                              ;   in Loop: Header=BB0_84 Depth=1
	s_cmpk_lg_i32 s53, 0x61
	s_cbranch_scc0 .LBB0_240
; %bb.239:                              ;   in Loop: Header=BB0_84 Depth=1
	s_add_u32 s8, s36, 0x1000
	s_addc_u32 s9, s37, 0
	s_mov_b64 s[4:5], s[38:39]
	s_mov_b64 s[10:11], s[34:35]
	s_mov_b32 s12, s45
	s_mov_b32 s13, s44
	;; [unrolled: 1-line block ×3, first 2 shown]
	v_mov_b32_e32 v31, v40
	s_getpc_b64 s[6:7]
	s_add_u32 s6, s6, _Z47ncclDevFunc_AllReduce_RING_SIMPLE_Sum_f32_0_0_1v@rel32@lo+4
	s_addc_u32 s7, s7, _Z47ncclDevFunc_AllReduce_RING_SIMPLE_Sum_f32_0_0_1v@rel32@hi+12
	s_swappc_b64 s[30:31], s[6:7]
	s_mov_b64 s[4:5], 0
.LBB0_240:                              ;   in Loop: Header=BB0_84 Depth=1
	s_andn2_b64 vcc, exec, s[4:5]
	s_cbranch_vccnz .LBB0_242
; %bb.241:                              ;   in Loop: Header=BB0_84 Depth=1
	s_add_u32 s8, s36, 0x1000
	s_addc_u32 s9, s37, 0
	s_mov_b64 s[4:5], s[38:39]
	s_mov_b64 s[10:11], s[34:35]
	s_mov_b32 s12, s45
	s_mov_b32 s13, s44
	;; [unrolled: 1-line block ×3, first 2 shown]
	v_mov_b32_e32 v31, v40
	s_getpc_b64 s[6:7]
	s_add_u32 s6, s6, _Z47ncclDevFunc_AllReduce_RING_SIMPLE_Sum_f16_0_0_1v@rel32@lo+4
	s_addc_u32 s7, s7, _Z47ncclDevFunc_AllReduce_RING_SIMPLE_Sum_f16_0_0_1v@rel32@hi+12
	s_swappc_b64 s[30:31], s[6:7]
.LBB0_242:                              ;   in Loop: Header=BB0_84 Depth=1
	s_mov_b64 s[4:5], 0
.LBB0_243:                              ;   in Loop: Header=BB0_84 Depth=1
	s_andn2_b64 vcc, exec, s[4:5]
	s_cbranch_vccnz .LBB0_245
; %bb.244:                              ;   in Loop: Header=BB0_84 Depth=1
	s_add_u32 s8, s36, 0x1000
	s_addc_u32 s9, s37, 0
	s_mov_b64 s[4:5], s[38:39]
	s_mov_b64 s[10:11], s[34:35]
	s_mov_b32 s12, s45
	s_mov_b32 s13, s44
	;; [unrolled: 1-line block ×3, first 2 shown]
	v_mov_b32_e32 v31, v40
	s_getpc_b64 s[6:7]
	s_add_u32 s6, s6, _Z47ncclDevFunc_AllReduce_RING_SIMPLE_Sum_u64_0_0_1v@rel32@lo+4
	s_addc_u32 s7, s7, _Z47ncclDevFunc_AllReduce_RING_SIMPLE_Sum_u64_0_0_1v@rel32@hi+12
	s_swappc_b64 s[30:31], s[6:7]
.LBB0_245:                              ;   in Loop: Header=BB0_84 Depth=1
	s_mov_b64 s[4:5], 0
.LBB0_246:                              ;   in Loop: Header=BB0_84 Depth=1
	s_andn2_b64 vcc, exec, s[4:5]
	s_cbranch_vccnz .LBB0_258
; %bb.247:                              ;   in Loop: Header=BB0_84 Depth=1
	s_cmpk_gt_u32 s53, 0x5a
	s_mov_b64 s[4:5], -1
	s_cbranch_scc0 .LBB0_253
; %bb.248:                              ;   in Loop: Header=BB0_84 Depth=1
	s_cmpk_lg_i32 s53, 0x5b
	s_cbranch_scc0 .LBB0_250
; %bb.249:                              ;   in Loop: Header=BB0_84 Depth=1
	s_add_u32 s8, s36, 0x1000
	s_addc_u32 s9, s37, 0
	s_mov_b64 s[4:5], s[38:39]
	s_mov_b64 s[10:11], s[34:35]
	s_mov_b32 s12, s45
	s_mov_b32 s13, s44
	;; [unrolled: 1-line block ×3, first 2 shown]
	v_mov_b32_e32 v31, v40
	s_getpc_b64 s[6:7]
	s_add_u32 s6, s6, _Z47ncclDevFunc_AllReduce_RING_SIMPLE_Sum_u32_0_0_1v@rel32@lo+4
	s_addc_u32 s7, s7, _Z47ncclDevFunc_AllReduce_RING_SIMPLE_Sum_u32_0_0_1v@rel32@hi+12
	s_swappc_b64 s[30:31], s[6:7]
	s_mov_b64 s[4:5], 0
.LBB0_250:                              ;   in Loop: Header=BB0_84 Depth=1
	s_andn2_b64 vcc, exec, s[4:5]
	s_cbranch_vccnz .LBB0_252
; %bb.251:                              ;   in Loop: Header=BB0_84 Depth=1
	s_add_u32 s8, s36, 0x1000
	s_addc_u32 s9, s37, 0
	s_mov_b64 s[4:5], s[38:39]
	s_mov_b64 s[10:11], s[34:35]
	s_mov_b32 s12, s45
	s_mov_b32 s13, s44
	;; [unrolled: 1-line block ×3, first 2 shown]
	v_mov_b32_e32 v31, v40
	s_getpc_b64 s[6:7]
	s_add_u32 s6, s6, _Z46ncclDevFunc_AllReduce_RING_SIMPLE_Sum_u8_0_0_1v@rel32@lo+4
	s_addc_u32 s7, s7, _Z46ncclDevFunc_AllReduce_RING_SIMPLE_Sum_u8_0_0_1v@rel32@hi+12
	s_swappc_b64 s[30:31], s[6:7]
.LBB0_252:                              ;   in Loop: Header=BB0_84 Depth=1
	s_mov_b64 s[4:5], 0
.LBB0_253:                              ;   in Loop: Header=BB0_84 Depth=1
	s_andn2_b64 vcc, exec, s[4:5]
	s_cbranch_vccnz .LBB0_258
; %bb.254:                              ;   in Loop: Header=BB0_84 Depth=1
	s_cmpk_eq_i32 s53, 0x5a
	s_mov_b64 s[4:5], -1
	s_cbranch_scc1 .LBB0_256
; %bb.255:                              ;   in Loop: Header=BB0_84 Depth=1
	s_add_u32 s8, s36, 0x1000
	s_addc_u32 s9, s37, 0
	s_mov_b64 s[4:5], s[38:39]
	s_mov_b64 s[10:11], s[34:35]
	s_mov_b32 s12, s45
	s_mov_b32 s13, s44
	;; [unrolled: 1-line block ×3, first 2 shown]
	v_mov_b32_e32 v31, v40
	s_getpc_b64 s[6:7]
	s_add_u32 s6, s6, _Z54ncclDevFunc_ReduceScatter_RING_LL_SumPostDiv_u32_0_0_1v@rel32@lo+4
	s_addc_u32 s7, s7, _Z54ncclDevFunc_ReduceScatter_RING_LL_SumPostDiv_u32_0_0_1v@rel32@hi+12
	s_swappc_b64 s[30:31], s[6:7]
	s_mov_b64 s[4:5], 0
.LBB0_256:                              ;   in Loop: Header=BB0_84 Depth=1
	s_andn2_b64 vcc, exec, s[4:5]
	s_cbranch_vccnz .LBB0_258
; %bb.257:                              ;   in Loop: Header=BB0_84 Depth=1
	s_add_u32 s8, s36, 0x1000
	s_addc_u32 s9, s37, 0
	s_mov_b64 s[4:5], s[38:39]
	s_mov_b64 s[10:11], s[34:35]
	s_mov_b32 s12, s45
	s_mov_b32 s13, s44
	;; [unrolled: 1-line block ×3, first 2 shown]
	v_mov_b32_e32 v31, v40
	s_getpc_b64 s[6:7]
	s_add_u32 s6, s6, _Z54ncclDevFunc_ReduceScatter_RING_LL_SumPostDiv_u64_0_0_1v@rel32@lo+4
	s_addc_u32 s7, s7, _Z54ncclDevFunc_ReduceScatter_RING_LL_SumPostDiv_u64_0_0_1v@rel32@hi+12
	s_swappc_b64 s[30:31], s[6:7]
.LBB0_258:                              ;   in Loop: Header=BB0_84 Depth=1
	s_mov_b64 s[4:5], 0
.LBB0_259:                              ;   in Loop: Header=BB0_84 Depth=1
	s_andn2_b64 vcc, exec, s[4:5]
	s_cbranch_vccnz .LBB0_570
; %bb.260:                              ;   in Loop: Header=BB0_84 Depth=1
	s_cmp_gt_u32 s53, 43
	s_mov_b64 s[4:5], -1
	s_cbranch_scc0 .LBB0_415
; %bb.261:                              ;   in Loop: Header=BB0_84 Depth=1
	s_cmpk_gt_u32 s53, 0x41
	s_cbranch_scc0 .LBB0_344
; %bb.262:                              ;   in Loop: Header=BB0_84 Depth=1
	s_cmpk_gt_u32 s53, 0x4c
	;; [unrolled: 3-line block ×4, first 2 shown]
	s_cbranch_scc0 .LBB0_274
; %bb.265:                              ;   in Loop: Header=BB0_84 Depth=1
	v_cmp_lt_i16_e32 vcc, s53, v58
	s_cbranch_vccnz .LBB0_271
; %bb.266:                              ;   in Loop: Header=BB0_84 Depth=1
	v_cmp_ne_u16_e32 vcc, s53, v58
	s_cbranch_vccz .LBB0_268
; %bb.267:                              ;   in Loop: Header=BB0_84 Depth=1
	s_add_u32 s8, s36, 0x1000
	s_addc_u32 s9, s37, 0
	s_mov_b64 s[4:5], s[38:39]
	s_mov_b64 s[10:11], s[34:35]
	s_mov_b32 s12, s45
	s_mov_b32 s13, s44
	;; [unrolled: 1-line block ×3, first 2 shown]
	v_mov_b32_e32 v31, v40
	s_getpc_b64 s[6:7]
	s_add_u32 s6, s6, _Z53ncclDevFunc_ReduceScatter_RING_LL_SumPostDiv_u8_0_0_1v@rel32@lo+4
	s_addc_u32 s7, s7, _Z53ncclDevFunc_ReduceScatter_RING_LL_SumPostDiv_u8_0_0_1v@rel32@hi+12
	s_swappc_b64 s[30:31], s[6:7]
	s_mov_b64 s[4:5], 0
.LBB0_268:                              ;   in Loop: Header=BB0_84 Depth=1
	s_andn2_b64 vcc, exec, s[4:5]
	s_cbranch_vccnz .LBB0_270
; %bb.269:                              ;   in Loop: Header=BB0_84 Depth=1
	s_add_u32 s8, s36, 0x1000
	s_addc_u32 s9, s37, 0
	s_mov_b64 s[4:5], s[38:39]
	s_mov_b64 s[10:11], s[34:35]
	s_mov_b32 s12, s45
	s_mov_b32 s13, s44
	s_mov_b32 s14, s33
	v_mov_b32_e32 v31, v40
	s_getpc_b64 s[6:7]
	s_add_u32 s6, s6, _Z56ncclDevFunc_ReduceScatter_RING_LL_PreMulSum_f8e5m2_0_0_1v@rel32@lo+4
	s_addc_u32 s7, s7, _Z56ncclDevFunc_ReduceScatter_RING_LL_PreMulSum_f8e5m2_0_0_1v@rel32@hi+12
	s_swappc_b64 s[30:31], s[6:7]
.LBB0_270:                              ;   in Loop: Header=BB0_84 Depth=1
	s_mov_b64 s[4:5], 0
.LBB0_271:                              ;   in Loop: Header=BB0_84 Depth=1
	s_andn2_b64 vcc, exec, s[4:5]
	s_cbranch_vccnz .LBB0_273
; %bb.272:                              ;   in Loop: Header=BB0_84 Depth=1
	s_add_u32 s8, s36, 0x1000
	s_addc_u32 s9, s37, 0
	s_mov_b64 s[4:5], s[38:39]
	s_mov_b64 s[10:11], s[34:35]
	s_mov_b32 s12, s45
	s_mov_b32 s13, s44
	;; [unrolled: 1-line block ×3, first 2 shown]
	v_mov_b32_e32 v31, v40
	s_getpc_b64 s[6:7]
	s_add_u32 s6, s6, _Z56ncclDevFunc_ReduceScatter_RING_LL_PreMulSum_f8e4m3_0_0_1v@rel32@lo+4
	s_addc_u32 s7, s7, _Z56ncclDevFunc_ReduceScatter_RING_LL_PreMulSum_f8e4m3_0_0_1v@rel32@hi+12
	s_swappc_b64 s[30:31], s[6:7]
.LBB0_273:                              ;   in Loop: Header=BB0_84 Depth=1
	s_mov_b64 s[4:5], 0
.LBB0_274:                              ;   in Loop: Header=BB0_84 Depth=1
	s_and_b64 vcc, exec, s[4:5]
	s_cbranch_vccz .LBB0_283
; %bb.275:                              ;   in Loop: Header=BB0_84 Depth=1
	v_cmp_lt_i16_e32 vcc, s53, v59
	s_mov_b64 s[4:5], -1
	s_cbranch_vccnz .LBB0_281
; %bb.276:                              ;   in Loop: Header=BB0_84 Depth=1
	v_cmp_ne_u16_e32 vcc, s53, v59
	s_cbranch_vccz .LBB0_278
; %bb.277:                              ;   in Loop: Header=BB0_84 Depth=1
	s_add_u32 s8, s36, 0x1000
	s_addc_u32 s9, s37, 0
	s_mov_b64 s[4:5], s[38:39]
	s_mov_b64 s[10:11], s[34:35]
	s_mov_b32 s12, s45
	s_mov_b32 s13, s44
	;; [unrolled: 1-line block ×3, first 2 shown]
	v_mov_b32_e32 v31, v40
	s_getpc_b64 s[6:7]
	s_add_u32 s6, s6, _Z54ncclDevFunc_ReduceScatter_RING_LL_PreMulSum_bf16_0_0_1v@rel32@lo+4
	s_addc_u32 s7, s7, _Z54ncclDevFunc_ReduceScatter_RING_LL_PreMulSum_bf16_0_0_1v@rel32@hi+12
	s_swappc_b64 s[30:31], s[6:7]
	s_mov_b64 s[4:5], 0
.LBB0_278:                              ;   in Loop: Header=BB0_84 Depth=1
	s_andn2_b64 vcc, exec, s[4:5]
	s_cbranch_vccnz .LBB0_280
; %bb.279:                              ;   in Loop: Header=BB0_84 Depth=1
	s_add_u32 s8, s36, 0x1000
	s_addc_u32 s9, s37, 0
	s_mov_b64 s[4:5], s[38:39]
	s_mov_b64 s[10:11], s[34:35]
	s_mov_b32 s12, s45
	s_mov_b32 s13, s44
	;; [unrolled: 1-line block ×3, first 2 shown]
	v_mov_b32_e32 v31, v40
	s_getpc_b64 s[6:7]
	s_add_u32 s6, s6, _Z53ncclDevFunc_ReduceScatter_RING_LL_PreMulSum_f64_0_0_1v@rel32@lo+4
	s_addc_u32 s7, s7, _Z53ncclDevFunc_ReduceScatter_RING_LL_PreMulSum_f64_0_0_1v@rel32@hi+12
	s_swappc_b64 s[30:31], s[6:7]
.LBB0_280:                              ;   in Loop: Header=BB0_84 Depth=1
	s_mov_b64 s[4:5], 0
.LBB0_281:                              ;   in Loop: Header=BB0_84 Depth=1
	s_andn2_b64 vcc, exec, s[4:5]
	s_cbranch_vccnz .LBB0_283
; %bb.282:                              ;   in Loop: Header=BB0_84 Depth=1
	s_add_u32 s8, s36, 0x1000
	s_addc_u32 s9, s37, 0
	s_mov_b64 s[4:5], s[38:39]
	s_mov_b64 s[10:11], s[34:35]
	s_mov_b32 s12, s45
	s_mov_b32 s13, s44
	;; [unrolled: 1-line block ×3, first 2 shown]
	v_mov_b32_e32 v31, v40
	s_getpc_b64 s[6:7]
	s_add_u32 s6, s6, _Z53ncclDevFunc_ReduceScatter_RING_LL_PreMulSum_f32_0_0_1v@rel32@lo+4
	s_addc_u32 s7, s7, _Z53ncclDevFunc_ReduceScatter_RING_LL_PreMulSum_f32_0_0_1v@rel32@hi+12
	s_swappc_b64 s[30:31], s[6:7]
.LBB0_283:                              ;   in Loop: Header=BB0_84 Depth=1
	s_mov_b64 s[4:5], 0
.LBB0_284:                              ;   in Loop: Header=BB0_84 Depth=1
	s_andn2_b64 vcc, exec, s[4:5]
	s_cbranch_vccnz .LBB0_304
; %bb.285:                              ;   in Loop: Header=BB0_84 Depth=1
	s_cmpk_gt_u32 s53, 0x4f
	s_mov_b64 s[4:5], -1
	s_cbranch_scc0 .LBB0_295
; %bb.286:                              ;   in Loop: Header=BB0_84 Depth=1
	v_cmp_lt_i16_e32 vcc, s53, v60
	s_cbranch_vccnz .LBB0_292
; %bb.287:                              ;   in Loop: Header=BB0_84 Depth=1
	v_cmp_ne_u16_e32 vcc, s53, v60
	s_cbranch_vccz .LBB0_289
; %bb.288:                              ;   in Loop: Header=BB0_84 Depth=1
	s_add_u32 s8, s36, 0x1000
	s_addc_u32 s9, s37, 0
	s_mov_b64 s[4:5], s[38:39]
	s_mov_b64 s[10:11], s[34:35]
	s_mov_b32 s12, s45
	s_mov_b32 s13, s44
	;; [unrolled: 1-line block ×3, first 2 shown]
	v_mov_b32_e32 v31, v40
	s_getpc_b64 s[6:7]
	s_add_u32 s6, s6, _Z53ncclDevFunc_ReduceScatter_RING_LL_PreMulSum_f16_0_0_1v@rel32@lo+4
	s_addc_u32 s7, s7, _Z53ncclDevFunc_ReduceScatter_RING_LL_PreMulSum_f16_0_0_1v@rel32@hi+12
	s_swappc_b64 s[30:31], s[6:7]
	s_mov_b64 s[4:5], 0
.LBB0_289:                              ;   in Loop: Header=BB0_84 Depth=1
	s_andn2_b64 vcc, exec, s[4:5]
	s_cbranch_vccnz .LBB0_291
; %bb.290:                              ;   in Loop: Header=BB0_84 Depth=1
	s_add_u32 s8, s36, 0x1000
	s_addc_u32 s9, s37, 0
	s_mov_b64 s[4:5], s[38:39]
	s_mov_b64 s[10:11], s[34:35]
	s_mov_b32 s12, s45
	s_mov_b32 s13, s44
	;; [unrolled: 1-line block ×3, first 2 shown]
	v_mov_b32_e32 v31, v40
	s_getpc_b64 s[6:7]
	s_add_u32 s6, s6, _Z53ncclDevFunc_ReduceScatter_RING_LL_PreMulSum_u64_0_0_1v@rel32@lo+4
	s_addc_u32 s7, s7, _Z53ncclDevFunc_ReduceScatter_RING_LL_PreMulSum_u64_0_0_1v@rel32@hi+12
	s_swappc_b64 s[30:31], s[6:7]
.LBB0_291:                              ;   in Loop: Header=BB0_84 Depth=1
	s_mov_b64 s[4:5], 0
.LBB0_292:                              ;   in Loop: Header=BB0_84 Depth=1
	s_andn2_b64 vcc, exec, s[4:5]
	s_cbranch_vccnz .LBB0_294
; %bb.293:                              ;   in Loop: Header=BB0_84 Depth=1
	s_add_u32 s8, s36, 0x1000
	s_addc_u32 s9, s37, 0
	s_mov_b64 s[4:5], s[38:39]
	s_mov_b64 s[10:11], s[34:35]
	s_mov_b32 s12, s45
	s_mov_b32 s13, s44
	;; [unrolled: 1-line block ×3, first 2 shown]
	v_mov_b32_e32 v31, v40
	s_getpc_b64 s[6:7]
	s_add_u32 s6, s6, _Z53ncclDevFunc_ReduceScatter_RING_LL_PreMulSum_u32_0_0_1v@rel32@lo+4
	s_addc_u32 s7, s7, _Z53ncclDevFunc_ReduceScatter_RING_LL_PreMulSum_u32_0_0_1v@rel32@hi+12
	s_swappc_b64 s[30:31], s[6:7]
.LBB0_294:                              ;   in Loop: Header=BB0_84 Depth=1
	s_mov_b64 s[4:5], 0
.LBB0_295:                              ;   in Loop: Header=BB0_84 Depth=1
	s_and_b64 vcc, exec, s[4:5]
	s_cbranch_vccz .LBB0_304
; %bb.296:                              ;   in Loop: Header=BB0_84 Depth=1
	v_cmp_lt_i16_e32 vcc, s53, v61
	s_mov_b64 s[4:5], -1
	s_cbranch_vccnz .LBB0_302
; %bb.297:                              ;   in Loop: Header=BB0_84 Depth=1
	v_cmp_ne_u16_e32 vcc, s53, v61
	s_cbranch_vccz .LBB0_299
; %bb.298:                              ;   in Loop: Header=BB0_84 Depth=1
	s_add_u32 s8, s36, 0x1000
	s_addc_u32 s9, s37, 0
	s_mov_b64 s[4:5], s[38:39]
	s_mov_b64 s[10:11], s[34:35]
	s_mov_b32 s12, s45
	s_mov_b32 s13, s44
	;; [unrolled: 1-line block ×3, first 2 shown]
	v_mov_b32_e32 v31, v40
	s_getpc_b64 s[6:7]
	s_add_u32 s6, s6, _Z52ncclDevFunc_ReduceScatter_RING_LL_PreMulSum_u8_0_0_1v@rel32@lo+4
	s_addc_u32 s7, s7, _Z52ncclDevFunc_ReduceScatter_RING_LL_PreMulSum_u8_0_0_1v@rel32@hi+12
	s_swappc_b64 s[30:31], s[6:7]
	s_mov_b64 s[4:5], 0
.LBB0_299:                              ;   in Loop: Header=BB0_84 Depth=1
	s_andn2_b64 vcc, exec, s[4:5]
	s_cbranch_vccnz .LBB0_301
; %bb.300:                              ;   in Loop: Header=BB0_84 Depth=1
	s_add_u32 s8, s36, 0x1000
	s_addc_u32 s9, s37, 0
	s_mov_b64 s[4:5], s[38:39]
	s_mov_b64 s[10:11], s[34:35]
	s_mov_b32 s12, s45
	s_mov_b32 s13, s44
	;; [unrolled: 1-line block ×3, first 2 shown]
	v_mov_b32_e32 v31, v40
	s_getpc_b64 s[6:7]
	s_add_u32 s6, s6, _Z53ncclDevFunc_ReduceScatter_RING_LL_MinMax_f8e5m2_0_0_1v@rel32@lo+4
	s_addc_u32 s7, s7, _Z53ncclDevFunc_ReduceScatter_RING_LL_MinMax_f8e5m2_0_0_1v@rel32@hi+12
	s_swappc_b64 s[30:31], s[6:7]
.LBB0_301:                              ;   in Loop: Header=BB0_84 Depth=1
	s_mov_b64 s[4:5], 0
.LBB0_302:                              ;   in Loop: Header=BB0_84 Depth=1
	s_andn2_b64 vcc, exec, s[4:5]
	s_cbranch_vccnz .LBB0_304
; %bb.303:                              ;   in Loop: Header=BB0_84 Depth=1
	s_add_u32 s8, s36, 0x1000
	s_addc_u32 s9, s37, 0
	s_mov_b64 s[4:5], s[38:39]
	s_mov_b64 s[10:11], s[34:35]
	s_mov_b32 s12, s45
	s_mov_b32 s13, s44
	;; [unrolled: 1-line block ×3, first 2 shown]
	v_mov_b32_e32 v31, v40
	s_getpc_b64 s[6:7]
	s_add_u32 s6, s6, _Z53ncclDevFunc_ReduceScatter_RING_LL_MinMax_f8e4m3_0_0_1v@rel32@lo+4
	s_addc_u32 s7, s7, _Z53ncclDevFunc_ReduceScatter_RING_LL_MinMax_f8e4m3_0_0_1v@rel32@hi+12
	s_swappc_b64 s[30:31], s[6:7]
.LBB0_304:                              ;   in Loop: Header=BB0_84 Depth=1
	s_mov_b64 s[4:5], 0
.LBB0_305:                              ;   in Loop: Header=BB0_84 Depth=1
	s_andn2_b64 vcc, exec, s[4:5]
	s_cbranch_vccnz .LBB0_343
; %bb.306:                              ;   in Loop: Header=BB0_84 Depth=1
	s_cmpk_gt_u32 s53, 0x46
	s_mov_b64 s[4:5], -1
	s_cbranch_scc0 .LBB0_327
; %bb.307:                              ;   in Loop: Header=BB0_84 Depth=1
	s_cmpk_gt_u32 s53, 0x49
	s_cbranch_scc0 .LBB0_317
; %bb.308:                              ;   in Loop: Header=BB0_84 Depth=1
	v_cmp_lt_i16_e32 vcc, s53, v62
	s_cbranch_vccnz .LBB0_314
; %bb.309:                              ;   in Loop: Header=BB0_84 Depth=1
	v_cmp_ne_u16_e32 vcc, s53, v62
	s_cbranch_vccz .LBB0_311
; %bb.310:                              ;   in Loop: Header=BB0_84 Depth=1
	s_add_u32 s8, s36, 0x1000
	s_addc_u32 s9, s37, 0
	s_mov_b64 s[4:5], s[38:39]
	s_mov_b64 s[10:11], s[34:35]
	s_mov_b32 s12, s45
	s_mov_b32 s13, s44
	;; [unrolled: 1-line block ×3, first 2 shown]
	v_mov_b32_e32 v31, v40
	s_getpc_b64 s[6:7]
	s_add_u32 s6, s6, _Z51ncclDevFunc_ReduceScatter_RING_LL_MinMax_bf16_0_0_1v@rel32@lo+4
	s_addc_u32 s7, s7, _Z51ncclDevFunc_ReduceScatter_RING_LL_MinMax_bf16_0_0_1v@rel32@hi+12
	s_swappc_b64 s[30:31], s[6:7]
	s_mov_b64 s[4:5], 0
.LBB0_311:                              ;   in Loop: Header=BB0_84 Depth=1
	s_andn2_b64 vcc, exec, s[4:5]
	s_cbranch_vccnz .LBB0_313
; %bb.312:                              ;   in Loop: Header=BB0_84 Depth=1
	s_add_u32 s8, s36, 0x1000
	s_addc_u32 s9, s37, 0
	s_mov_b64 s[4:5], s[38:39]
	s_mov_b64 s[10:11], s[34:35]
	s_mov_b32 s12, s45
	s_mov_b32 s13, s44
	;; [unrolled: 1-line block ×3, first 2 shown]
	v_mov_b32_e32 v31, v40
	s_getpc_b64 s[6:7]
	s_add_u32 s6, s6, _Z50ncclDevFunc_ReduceScatter_RING_LL_MinMax_f64_0_0_1v@rel32@lo+4
	s_addc_u32 s7, s7, _Z50ncclDevFunc_ReduceScatter_RING_LL_MinMax_f64_0_0_1v@rel32@hi+12
	s_swappc_b64 s[30:31], s[6:7]
.LBB0_313:                              ;   in Loop: Header=BB0_84 Depth=1
	s_mov_b64 s[4:5], 0
.LBB0_314:                              ;   in Loop: Header=BB0_84 Depth=1
	s_andn2_b64 vcc, exec, s[4:5]
	s_cbranch_vccnz .LBB0_316
; %bb.315:                              ;   in Loop: Header=BB0_84 Depth=1
	s_add_u32 s8, s36, 0x1000
	s_addc_u32 s9, s37, 0
	s_mov_b64 s[4:5], s[38:39]
	s_mov_b64 s[10:11], s[34:35]
	s_mov_b32 s12, s45
	s_mov_b32 s13, s44
	;; [unrolled: 1-line block ×3, first 2 shown]
	v_mov_b32_e32 v31, v40
	s_getpc_b64 s[6:7]
	s_add_u32 s6, s6, _Z50ncclDevFunc_ReduceScatter_RING_LL_MinMax_f32_0_0_1v@rel32@lo+4
	s_addc_u32 s7, s7, _Z50ncclDevFunc_ReduceScatter_RING_LL_MinMax_f32_0_0_1v@rel32@hi+12
	s_swappc_b64 s[30:31], s[6:7]
.LBB0_316:                              ;   in Loop: Header=BB0_84 Depth=1
	s_mov_b64 s[4:5], 0
.LBB0_317:                              ;   in Loop: Header=BB0_84 Depth=1
	s_and_b64 vcc, exec, s[4:5]
	s_cbranch_vccz .LBB0_326
; %bb.318:                              ;   in Loop: Header=BB0_84 Depth=1
	v_cmp_lt_i16_e32 vcc, s53, v63
	s_mov_b64 s[4:5], -1
	s_cbranch_vccnz .LBB0_324
; %bb.319:                              ;   in Loop: Header=BB0_84 Depth=1
	v_cmp_ne_u16_e32 vcc, s53, v63
	s_cbranch_vccz .LBB0_321
; %bb.320:                              ;   in Loop: Header=BB0_84 Depth=1
	s_add_u32 s8, s36, 0x1000
	s_addc_u32 s9, s37, 0
	s_mov_b64 s[4:5], s[38:39]
	s_mov_b64 s[10:11], s[34:35]
	s_mov_b32 s12, s45
	s_mov_b32 s13, s44
	;; [unrolled: 1-line block ×3, first 2 shown]
	v_mov_b32_e32 v31, v40
	s_getpc_b64 s[6:7]
	s_add_u32 s6, s6, _Z50ncclDevFunc_ReduceScatter_RING_LL_MinMax_f16_0_0_1v@rel32@lo+4
	s_addc_u32 s7, s7, _Z50ncclDevFunc_ReduceScatter_RING_LL_MinMax_f16_0_0_1v@rel32@hi+12
	s_swappc_b64 s[30:31], s[6:7]
	s_mov_b64 s[4:5], 0
.LBB0_321:                              ;   in Loop: Header=BB0_84 Depth=1
	s_andn2_b64 vcc, exec, s[4:5]
	s_cbranch_vccnz .LBB0_323
; %bb.322:                              ;   in Loop: Header=BB0_84 Depth=1
	s_add_u32 s8, s36, 0x1000
	s_addc_u32 s9, s37, 0
	s_mov_b64 s[4:5], s[38:39]
	s_mov_b64 s[10:11], s[34:35]
	s_mov_b32 s12, s45
	s_mov_b32 s13, s44
	;; [unrolled: 1-line block ×3, first 2 shown]
	v_mov_b32_e32 v31, v40
	s_getpc_b64 s[6:7]
	s_add_u32 s6, s6, _Z50ncclDevFunc_ReduceScatter_RING_LL_MinMax_u64_0_0_1v@rel32@lo+4
	s_addc_u32 s7, s7, _Z50ncclDevFunc_ReduceScatter_RING_LL_MinMax_u64_0_0_1v@rel32@hi+12
	s_swappc_b64 s[30:31], s[6:7]
.LBB0_323:                              ;   in Loop: Header=BB0_84 Depth=1
	s_mov_b64 s[4:5], 0
.LBB0_324:                              ;   in Loop: Header=BB0_84 Depth=1
	s_andn2_b64 vcc, exec, s[4:5]
	s_cbranch_vccnz .LBB0_326
; %bb.325:                              ;   in Loop: Header=BB0_84 Depth=1
	s_add_u32 s8, s36, 0x1000
	s_addc_u32 s9, s37, 0
	s_mov_b64 s[4:5], s[38:39]
	s_mov_b64 s[10:11], s[34:35]
	s_mov_b32 s12, s45
	s_mov_b32 s13, s44
	;; [unrolled: 1-line block ×3, first 2 shown]
	v_mov_b32_e32 v31, v40
	s_getpc_b64 s[6:7]
	s_add_u32 s6, s6, _Z50ncclDevFunc_ReduceScatter_RING_LL_MinMax_u32_0_0_1v@rel32@lo+4
	s_addc_u32 s7, s7, _Z50ncclDevFunc_ReduceScatter_RING_LL_MinMax_u32_0_0_1v@rel32@hi+12
	s_swappc_b64 s[30:31], s[6:7]
.LBB0_326:                              ;   in Loop: Header=BB0_84 Depth=1
	s_mov_b64 s[4:5], 0
.LBB0_327:                              ;   in Loop: Header=BB0_84 Depth=1
	s_andn2_b64 vcc, exec, s[4:5]
	s_cbranch_vccnz .LBB0_343
; %bb.328:                              ;   in Loop: Header=BB0_84 Depth=1
	s_cmpk_gt_u32 s53, 0x43
	s_mov_b64 s[4:5], -1
	s_cbranch_scc0 .LBB0_338
; %bb.329:                              ;   in Loop: Header=BB0_84 Depth=1
	v_cmp_lt_i16_e32 vcc, s53, v72
	s_cbranch_vccnz .LBB0_335
; %bb.330:                              ;   in Loop: Header=BB0_84 Depth=1
	v_cmp_ne_u16_e32 vcc, s53, v72
	s_cbranch_vccz .LBB0_332
; %bb.331:                              ;   in Loop: Header=BB0_84 Depth=1
	s_add_u32 s8, s36, 0x1000
	s_addc_u32 s9, s37, 0
	s_mov_b64 s[4:5], s[38:39]
	s_mov_b64 s[10:11], s[34:35]
	s_mov_b32 s12, s45
	s_mov_b32 s13, s44
	;; [unrolled: 1-line block ×3, first 2 shown]
	v_mov_b32_e32 v31, v40
	s_getpc_b64 s[6:7]
	s_add_u32 s6, s6, _Z49ncclDevFunc_ReduceScatter_RING_LL_MinMax_u8_0_0_1v@rel32@lo+4
	s_addc_u32 s7, s7, _Z49ncclDevFunc_ReduceScatter_RING_LL_MinMax_u8_0_0_1v@rel32@hi+12
	s_swappc_b64 s[30:31], s[6:7]
	s_mov_b64 s[4:5], 0
.LBB0_332:                              ;   in Loop: Header=BB0_84 Depth=1
	s_andn2_b64 vcc, exec, s[4:5]
	s_cbranch_vccnz .LBB0_334
; %bb.333:                              ;   in Loop: Header=BB0_84 Depth=1
	s_add_u32 s8, s36, 0x1000
	s_addc_u32 s9, s37, 0
	s_mov_b64 s[4:5], s[38:39]
	s_mov_b64 s[10:11], s[34:35]
	s_mov_b32 s12, s45
	s_mov_b32 s13, s44
	;; [unrolled: 1-line block ×3, first 2 shown]
	v_mov_b32_e32 v31, v40
	s_getpc_b64 s[6:7]
	s_add_u32 s6, s6, _Z51ncclDevFunc_ReduceScatter_RING_LL_Prod_f8e5m2_0_0_1v@rel32@lo+4
	s_addc_u32 s7, s7, _Z51ncclDevFunc_ReduceScatter_RING_LL_Prod_f8e5m2_0_0_1v@rel32@hi+12
	s_swappc_b64 s[30:31], s[6:7]
.LBB0_334:                              ;   in Loop: Header=BB0_84 Depth=1
	s_mov_b64 s[4:5], 0
.LBB0_335:                              ;   in Loop: Header=BB0_84 Depth=1
	s_andn2_b64 vcc, exec, s[4:5]
	s_cbranch_vccnz .LBB0_337
; %bb.336:                              ;   in Loop: Header=BB0_84 Depth=1
	s_add_u32 s8, s36, 0x1000
	s_addc_u32 s9, s37, 0
	s_mov_b64 s[4:5], s[38:39]
	s_mov_b64 s[10:11], s[34:35]
	s_mov_b32 s12, s45
	s_mov_b32 s13, s44
	;; [unrolled: 1-line block ×3, first 2 shown]
	v_mov_b32_e32 v31, v40
	s_getpc_b64 s[6:7]
	s_add_u32 s6, s6, _Z51ncclDevFunc_ReduceScatter_RING_LL_Prod_f8e4m3_0_0_1v@rel32@lo+4
	s_addc_u32 s7, s7, _Z51ncclDevFunc_ReduceScatter_RING_LL_Prod_f8e4m3_0_0_1v@rel32@hi+12
	s_swappc_b64 s[30:31], s[6:7]
.LBB0_337:                              ;   in Loop: Header=BB0_84 Depth=1
	s_mov_b64 s[4:5], 0
.LBB0_338:                              ;   in Loop: Header=BB0_84 Depth=1
	s_and_b64 vcc, exec, s[4:5]
	s_cbranch_vccz .LBB0_343
; %bb.339:                              ;   in Loop: Header=BB0_84 Depth=1
	s_cmpk_eq_i32 s53, 0x43
	s_mov_b64 s[4:5], -1
	s_cbranch_scc1 .LBB0_341
; %bb.340:                              ;   in Loop: Header=BB0_84 Depth=1
	s_add_u32 s8, s36, 0x1000
	s_addc_u32 s9, s37, 0
	s_mov_b64 s[4:5], s[38:39]
	s_mov_b64 s[10:11], s[34:35]
	s_mov_b32 s12, s45
	s_mov_b32 s13, s44
	;; [unrolled: 1-line block ×3, first 2 shown]
	v_mov_b32_e32 v31, v40
	s_getpc_b64 s[6:7]
	s_add_u32 s6, s6, _Z48ncclDevFunc_ReduceScatter_RING_LL_Prod_f64_0_0_1v@rel32@lo+4
	s_addc_u32 s7, s7, _Z48ncclDevFunc_ReduceScatter_RING_LL_Prod_f64_0_0_1v@rel32@hi+12
	s_swappc_b64 s[30:31], s[6:7]
	s_mov_b64 s[4:5], 0
.LBB0_341:                              ;   in Loop: Header=BB0_84 Depth=1
	s_andn2_b64 vcc, exec, s[4:5]
	s_cbranch_vccnz .LBB0_343
; %bb.342:                              ;   in Loop: Header=BB0_84 Depth=1
	s_add_u32 s8, s36, 0x1000
	s_addc_u32 s9, s37, 0
	s_mov_b64 s[4:5], s[38:39]
	s_mov_b64 s[10:11], s[34:35]
	s_mov_b32 s12, s45
	s_mov_b32 s13, s44
	;; [unrolled: 1-line block ×3, first 2 shown]
	v_mov_b32_e32 v31, v40
	s_getpc_b64 s[6:7]
	s_add_u32 s6, s6, _Z49ncclDevFunc_ReduceScatter_RING_LL_Prod_bf16_0_0_1v@rel32@lo+4
	s_addc_u32 s7, s7, _Z49ncclDevFunc_ReduceScatter_RING_LL_Prod_bf16_0_0_1v@rel32@hi+12
	s_swappc_b64 s[30:31], s[6:7]
.LBB0_343:                              ;   in Loop: Header=BB0_84 Depth=1
	s_mov_b64 s[4:5], 0
.LBB0_344:                              ;   in Loop: Header=BB0_84 Depth=1
	s_andn2_b64 vcc, exec, s[4:5]
	s_cbranch_vccnz .LBB0_414
; %bb.345:                              ;   in Loop: Header=BB0_84 Depth=1
	s_cmp_gt_u32 s53, 54
	s_mov_b64 s[4:5], -1
	s_cbranch_scc0 .LBB0_384
; %bb.346:                              ;   in Loop: Header=BB0_84 Depth=1
	s_cmp_gt_u32 s53, 59
	s_cbranch_scc0 .LBB0_367
; %bb.347:                              ;   in Loop: Header=BB0_84 Depth=1
	s_cmp_gt_u32 s53, 62
	s_cbranch_scc0 .LBB0_357
; %bb.348:                              ;   in Loop: Header=BB0_84 Depth=1
	v_cmp_lt_i16_e64 s[6:7], s53, 64
	s_and_b64 vcc, exec, s[6:7]
	s_cbranch_vccnz .LBB0_354
; %bb.349:                              ;   in Loop: Header=BB0_84 Depth=1
	v_cmp_ne_u16_e64 s[6:7], s53, 64
	s_and_b64 vcc, exec, s[6:7]
	s_cbranch_vccz .LBB0_351
; %bb.350:                              ;   in Loop: Header=BB0_84 Depth=1
	s_add_u32 s8, s36, 0x1000
	s_addc_u32 s9, s37, 0
	s_mov_b64 s[4:5], s[38:39]
	s_mov_b64 s[10:11], s[34:35]
	s_mov_b32 s12, s45
	s_mov_b32 s13, s44
	s_mov_b32 s14, s33
	v_mov_b32_e32 v31, v40
	s_getpc_b64 s[6:7]
	s_add_u32 s6, s6, _Z48ncclDevFunc_ReduceScatter_RING_LL_Prod_f32_0_0_1v@rel32@lo+4
	s_addc_u32 s7, s7, _Z48ncclDevFunc_ReduceScatter_RING_LL_Prod_f32_0_0_1v@rel32@hi+12
	s_swappc_b64 s[30:31], s[6:7]
	s_mov_b64 s[4:5], 0
.LBB0_351:                              ;   in Loop: Header=BB0_84 Depth=1
	s_andn2_b64 vcc, exec, s[4:5]
	s_cbranch_vccnz .LBB0_353
; %bb.352:                              ;   in Loop: Header=BB0_84 Depth=1
	s_add_u32 s8, s36, 0x1000
	s_addc_u32 s9, s37, 0
	s_mov_b64 s[4:5], s[38:39]
	s_mov_b64 s[10:11], s[34:35]
	s_mov_b32 s12, s45
	s_mov_b32 s13, s44
	;; [unrolled: 1-line block ×3, first 2 shown]
	v_mov_b32_e32 v31, v40
	s_getpc_b64 s[6:7]
	s_add_u32 s6, s6, _Z48ncclDevFunc_ReduceScatter_RING_LL_Prod_f16_0_0_1v@rel32@lo+4
	s_addc_u32 s7, s7, _Z48ncclDevFunc_ReduceScatter_RING_LL_Prod_f16_0_0_1v@rel32@hi+12
	s_swappc_b64 s[30:31], s[6:7]
.LBB0_353:                              ;   in Loop: Header=BB0_84 Depth=1
	s_mov_b64 s[4:5], 0
.LBB0_354:                              ;   in Loop: Header=BB0_84 Depth=1
	s_andn2_b64 vcc, exec, s[4:5]
	s_cbranch_vccnz .LBB0_356
; %bb.355:                              ;   in Loop: Header=BB0_84 Depth=1
	s_add_u32 s8, s36, 0x1000
	s_addc_u32 s9, s37, 0
	s_mov_b64 s[4:5], s[38:39]
	s_mov_b64 s[10:11], s[34:35]
	s_mov_b32 s12, s45
	s_mov_b32 s13, s44
	;; [unrolled: 1-line block ×3, first 2 shown]
	v_mov_b32_e32 v31, v40
	s_getpc_b64 s[6:7]
	s_add_u32 s6, s6, _Z48ncclDevFunc_ReduceScatter_RING_LL_Prod_u64_0_0_1v@rel32@lo+4
	s_addc_u32 s7, s7, _Z48ncclDevFunc_ReduceScatter_RING_LL_Prod_u64_0_0_1v@rel32@hi+12
	s_swappc_b64 s[30:31], s[6:7]
.LBB0_356:                              ;   in Loop: Header=BB0_84 Depth=1
	s_mov_b64 s[4:5], 0
.LBB0_357:                              ;   in Loop: Header=BB0_84 Depth=1
	s_and_b64 vcc, exec, s[4:5]
	s_cbranch_vccz .LBB0_366
; %bb.358:                              ;   in Loop: Header=BB0_84 Depth=1
	v_cmp_lt_i16_e64 s[6:7], s53, 61
	s_mov_b64 s[4:5], -1
	s_and_b64 vcc, exec, s[6:7]
	s_cbranch_vccnz .LBB0_364
; %bb.359:                              ;   in Loop: Header=BB0_84 Depth=1
	v_cmp_ne_u16_e64 s[6:7], s53, 61
	s_and_b64 vcc, exec, s[6:7]
	s_cbranch_vccz .LBB0_361
; %bb.360:                              ;   in Loop: Header=BB0_84 Depth=1
	s_add_u32 s8, s36, 0x1000
	s_addc_u32 s9, s37, 0
	s_mov_b64 s[4:5], s[38:39]
	s_mov_b64 s[10:11], s[34:35]
	s_mov_b32 s12, s45
	s_mov_b32 s13, s44
	;; [unrolled: 1-line block ×3, first 2 shown]
	v_mov_b32_e32 v31, v40
	s_getpc_b64 s[6:7]
	s_add_u32 s6, s6, _Z48ncclDevFunc_ReduceScatter_RING_LL_Prod_u32_0_0_1v@rel32@lo+4
	s_addc_u32 s7, s7, _Z48ncclDevFunc_ReduceScatter_RING_LL_Prod_u32_0_0_1v@rel32@hi+12
	s_swappc_b64 s[30:31], s[6:7]
	s_mov_b64 s[4:5], 0
.LBB0_361:                              ;   in Loop: Header=BB0_84 Depth=1
	s_andn2_b64 vcc, exec, s[4:5]
	s_cbranch_vccnz .LBB0_363
; %bb.362:                              ;   in Loop: Header=BB0_84 Depth=1
	s_add_u32 s8, s36, 0x1000
	s_addc_u32 s9, s37, 0
	s_mov_b64 s[4:5], s[38:39]
	s_mov_b64 s[10:11], s[34:35]
	s_mov_b32 s12, s45
	s_mov_b32 s13, s44
	;; [unrolled: 1-line block ×3, first 2 shown]
	v_mov_b32_e32 v31, v40
	s_getpc_b64 s[6:7]
	s_add_u32 s6, s6, _Z47ncclDevFunc_ReduceScatter_RING_LL_Prod_u8_0_0_1v@rel32@lo+4
	s_addc_u32 s7, s7, _Z47ncclDevFunc_ReduceScatter_RING_LL_Prod_u8_0_0_1v@rel32@hi+12
	s_swappc_b64 s[30:31], s[6:7]
.LBB0_363:                              ;   in Loop: Header=BB0_84 Depth=1
	s_mov_b64 s[4:5], 0
.LBB0_364:                              ;   in Loop: Header=BB0_84 Depth=1
	s_andn2_b64 vcc, exec, s[4:5]
	s_cbranch_vccnz .LBB0_366
; %bb.365:                              ;   in Loop: Header=BB0_84 Depth=1
	s_add_u32 s8, s36, 0x1000
	s_addc_u32 s9, s37, 0
	s_mov_b64 s[4:5], s[38:39]
	s_mov_b64 s[10:11], s[34:35]
	s_mov_b32 s12, s45
	s_mov_b32 s13, s44
	;; [unrolled: 1-line block ×3, first 2 shown]
	v_mov_b32_e32 v31, v40
	s_getpc_b64 s[6:7]
	s_add_u32 s6, s6, _Z50ncclDevFunc_ReduceScatter_RING_LL_Sum_f8e5m2_0_0_1v@rel32@lo+4
	s_addc_u32 s7, s7, _Z50ncclDevFunc_ReduceScatter_RING_LL_Sum_f8e5m2_0_0_1v@rel32@hi+12
	s_swappc_b64 s[30:31], s[6:7]
.LBB0_366:                              ;   in Loop: Header=BB0_84 Depth=1
	s_mov_b64 s[4:5], 0
.LBB0_367:                              ;   in Loop: Header=BB0_84 Depth=1
	s_andn2_b64 vcc, exec, s[4:5]
	s_cbranch_vccnz .LBB0_383
; %bb.368:                              ;   in Loop: Header=BB0_84 Depth=1
	s_cmp_gt_u32 s53, 56
	s_mov_b64 s[4:5], -1
	s_cbranch_scc0 .LBB0_378
; %bb.369:                              ;   in Loop: Header=BB0_84 Depth=1
	v_cmp_lt_i16_e64 s[6:7], s53, 58
	s_and_b64 vcc, exec, s[6:7]
	s_cbranch_vccnz .LBB0_375
; %bb.370:                              ;   in Loop: Header=BB0_84 Depth=1
	v_cmp_ne_u16_e64 s[6:7], s53, 58
	s_and_b64 vcc, exec, s[6:7]
	s_cbranch_vccz .LBB0_372
; %bb.371:                              ;   in Loop: Header=BB0_84 Depth=1
	s_add_u32 s8, s36, 0x1000
	s_addc_u32 s9, s37, 0
	s_mov_b64 s[4:5], s[38:39]
	s_mov_b64 s[10:11], s[34:35]
	s_mov_b32 s12, s45
	s_mov_b32 s13, s44
	s_mov_b32 s14, s33
	v_mov_b32_e32 v31, v40
	s_getpc_b64 s[6:7]
	s_add_u32 s6, s6, _Z50ncclDevFunc_ReduceScatter_RING_LL_Sum_f8e4m3_0_0_1v@rel32@lo+4
	s_addc_u32 s7, s7, _Z50ncclDevFunc_ReduceScatter_RING_LL_Sum_f8e4m3_0_0_1v@rel32@hi+12
	s_swappc_b64 s[30:31], s[6:7]
	s_mov_b64 s[4:5], 0
.LBB0_372:                              ;   in Loop: Header=BB0_84 Depth=1
	s_andn2_b64 vcc, exec, s[4:5]
	s_cbranch_vccnz .LBB0_374
; %bb.373:                              ;   in Loop: Header=BB0_84 Depth=1
	s_add_u32 s8, s36, 0x1000
	s_addc_u32 s9, s37, 0
	s_mov_b64 s[4:5], s[38:39]
	s_mov_b64 s[10:11], s[34:35]
	s_mov_b32 s12, s45
	s_mov_b32 s13, s44
	;; [unrolled: 1-line block ×3, first 2 shown]
	v_mov_b32_e32 v31, v40
	s_getpc_b64 s[6:7]
	s_add_u32 s6, s6, _Z48ncclDevFunc_ReduceScatter_RING_LL_Sum_bf16_0_0_1v@rel32@lo+4
	s_addc_u32 s7, s7, _Z48ncclDevFunc_ReduceScatter_RING_LL_Sum_bf16_0_0_1v@rel32@hi+12
	s_swappc_b64 s[30:31], s[6:7]
.LBB0_374:                              ;   in Loop: Header=BB0_84 Depth=1
	s_mov_b64 s[4:5], 0
.LBB0_375:                              ;   in Loop: Header=BB0_84 Depth=1
	s_andn2_b64 vcc, exec, s[4:5]
	s_cbranch_vccnz .LBB0_377
; %bb.376:                              ;   in Loop: Header=BB0_84 Depth=1
	s_add_u32 s8, s36, 0x1000
	s_addc_u32 s9, s37, 0
	s_mov_b64 s[4:5], s[38:39]
	s_mov_b64 s[10:11], s[34:35]
	s_mov_b32 s12, s45
	s_mov_b32 s13, s44
	;; [unrolled: 1-line block ×3, first 2 shown]
	v_mov_b32_e32 v31, v40
	s_getpc_b64 s[6:7]
	s_add_u32 s6, s6, _Z47ncclDevFunc_ReduceScatter_RING_LL_Sum_f64_0_0_1v@rel32@lo+4
	s_addc_u32 s7, s7, _Z47ncclDevFunc_ReduceScatter_RING_LL_Sum_f64_0_0_1v@rel32@hi+12
	s_swappc_b64 s[30:31], s[6:7]
.LBB0_377:                              ;   in Loop: Header=BB0_84 Depth=1
	s_mov_b64 s[4:5], 0
.LBB0_378:                              ;   in Loop: Header=BB0_84 Depth=1
	s_and_b64 vcc, exec, s[4:5]
	s_cbranch_vccz .LBB0_383
; %bb.379:                              ;   in Loop: Header=BB0_84 Depth=1
	s_cmp_eq_u32 s53, 56
	s_mov_b64 s[4:5], -1
	s_cbranch_scc1 .LBB0_381
; %bb.380:                              ;   in Loop: Header=BB0_84 Depth=1
	s_add_u32 s8, s36, 0x1000
	s_addc_u32 s9, s37, 0
	s_mov_b64 s[4:5], s[38:39]
	s_mov_b64 s[10:11], s[34:35]
	s_mov_b32 s12, s45
	s_mov_b32 s13, s44
	;; [unrolled: 1-line block ×3, first 2 shown]
	v_mov_b32_e32 v31, v40
	s_getpc_b64 s[6:7]
	s_add_u32 s6, s6, _Z47ncclDevFunc_ReduceScatter_RING_LL_Sum_f16_0_0_1v@rel32@lo+4
	s_addc_u32 s7, s7, _Z47ncclDevFunc_ReduceScatter_RING_LL_Sum_f16_0_0_1v@rel32@hi+12
	s_swappc_b64 s[30:31], s[6:7]
	s_mov_b64 s[4:5], 0
.LBB0_381:                              ;   in Loop: Header=BB0_84 Depth=1
	s_andn2_b64 vcc, exec, s[4:5]
	s_cbranch_vccnz .LBB0_383
; %bb.382:                              ;   in Loop: Header=BB0_84 Depth=1
	s_add_u32 s8, s36, 0x1000
	s_addc_u32 s9, s37, 0
	s_mov_b64 s[4:5], s[38:39]
	s_mov_b64 s[10:11], s[34:35]
	s_mov_b32 s12, s45
	s_mov_b32 s13, s44
	;; [unrolled: 1-line block ×3, first 2 shown]
	v_mov_b32_e32 v31, v40
	s_getpc_b64 s[6:7]
	s_add_u32 s6, s6, _Z47ncclDevFunc_ReduceScatter_RING_LL_Sum_f32_0_0_1v@rel32@lo+4
	s_addc_u32 s7, s7, _Z47ncclDevFunc_ReduceScatter_RING_LL_Sum_f32_0_0_1v@rel32@hi+12
	s_swappc_b64 s[30:31], s[6:7]
.LBB0_383:                              ;   in Loop: Header=BB0_84 Depth=1
	s_mov_b64 s[4:5], 0
.LBB0_384:                              ;   in Loop: Header=BB0_84 Depth=1
	s_andn2_b64 vcc, exec, s[4:5]
	s_cbranch_vccnz .LBB0_414
; %bb.385:                              ;   in Loop: Header=BB0_84 Depth=1
	s_cmp_gt_u32 s53, 48
	s_mov_b64 s[4:5], -1
	s_cbranch_scc0 .LBB0_402
; %bb.386:                              ;   in Loop: Header=BB0_84 Depth=1
	s_cmp_gt_u32 s53, 51
	s_cbranch_scc0 .LBB0_396
; %bb.387:                              ;   in Loop: Header=BB0_84 Depth=1
	v_cmp_lt_i16_e64 s[6:7], s53, 53
	s_and_b64 vcc, exec, s[6:7]
	s_cbranch_vccnz .LBB0_393
; %bb.388:                              ;   in Loop: Header=BB0_84 Depth=1
	v_cmp_ne_u16_e64 s[6:7], s53, 53
	s_and_b64 vcc, exec, s[6:7]
	s_cbranch_vccz .LBB0_390
; %bb.389:                              ;   in Loop: Header=BB0_84 Depth=1
	s_add_u32 s8, s36, 0x1000
	s_addc_u32 s9, s37, 0
	s_mov_b64 s[4:5], s[38:39]
	s_mov_b64 s[10:11], s[34:35]
	s_mov_b32 s12, s45
	s_mov_b32 s13, s44
	;; [unrolled: 1-line block ×3, first 2 shown]
	v_mov_b32_e32 v31, v40
	s_getpc_b64 s[6:7]
	s_add_u32 s6, s6, _Z47ncclDevFunc_ReduceScatter_RING_LL_Sum_u64_0_0_1v@rel32@lo+4
	s_addc_u32 s7, s7, _Z47ncclDevFunc_ReduceScatter_RING_LL_Sum_u64_0_0_1v@rel32@hi+12
	s_swappc_b64 s[30:31], s[6:7]
	s_mov_b64 s[4:5], 0
.LBB0_390:                              ;   in Loop: Header=BB0_84 Depth=1
	s_andn2_b64 vcc, exec, s[4:5]
	s_cbranch_vccnz .LBB0_392
; %bb.391:                              ;   in Loop: Header=BB0_84 Depth=1
	s_add_u32 s8, s36, 0x1000
	s_addc_u32 s9, s37, 0
	s_mov_b64 s[4:5], s[38:39]
	s_mov_b64 s[10:11], s[34:35]
	s_mov_b32 s12, s45
	s_mov_b32 s13, s44
	;; [unrolled: 1-line block ×3, first 2 shown]
	v_mov_b32_e32 v31, v40
	s_getpc_b64 s[6:7]
	s_add_u32 s6, s6, _Z47ncclDevFunc_ReduceScatter_RING_LL_Sum_u32_0_0_1v@rel32@lo+4
	s_addc_u32 s7, s7, _Z47ncclDevFunc_ReduceScatter_RING_LL_Sum_u32_0_0_1v@rel32@hi+12
	s_swappc_b64 s[30:31], s[6:7]
.LBB0_392:                              ;   in Loop: Header=BB0_84 Depth=1
	s_mov_b64 s[4:5], 0
.LBB0_393:                              ;   in Loop: Header=BB0_84 Depth=1
	s_andn2_b64 vcc, exec, s[4:5]
	s_cbranch_vccnz .LBB0_395
; %bb.394:                              ;   in Loop: Header=BB0_84 Depth=1
	s_add_u32 s8, s36, 0x1000
	s_addc_u32 s9, s37, 0
	s_mov_b64 s[4:5], s[38:39]
	s_mov_b64 s[10:11], s[34:35]
	s_mov_b32 s12, s45
	s_mov_b32 s13, s44
	;; [unrolled: 1-line block ×3, first 2 shown]
	v_mov_b32_e32 v31, v40
	s_getpc_b64 s[6:7]
	s_add_u32 s6, s6, _Z46ncclDevFunc_ReduceScatter_RING_LL_Sum_u8_0_0_1v@rel32@lo+4
	s_addc_u32 s7, s7, _Z46ncclDevFunc_ReduceScatter_RING_LL_Sum_u8_0_0_1v@rel32@hi+12
	s_swappc_b64 s[30:31], s[6:7]
.LBB0_395:                              ;   in Loop: Header=BB0_84 Depth=1
	s_mov_b64 s[4:5], 0
.LBB0_396:                              ;   in Loop: Header=BB0_84 Depth=1
	s_and_b64 vcc, exec, s[4:5]
	s_cbranch_vccz .LBB0_401
; %bb.397:                              ;   in Loop: Header=BB0_84 Depth=1
	s_cmp_lg_u32 s53, 49
	s_mov_b64 s[4:5], -1
	s_cbranch_scc0 .LBB0_399
; %bb.398:                              ;   in Loop: Header=BB0_84 Depth=1
	s_add_u32 s8, s36, 0x1000
	s_addc_u32 s9, s37, 0
	s_mov_b64 s[4:5], s[38:39]
	s_mov_b64 s[10:11], s[34:35]
	s_mov_b32 s12, s45
	s_mov_b32 s13, s44
	;; [unrolled: 1-line block ×3, first 2 shown]
	v_mov_b32_e32 v31, v40
	s_getpc_b64 s[6:7]
	s_add_u32 s6, s6, _Z45ncclDevFunc_AllGather_PAT_SIMPLE_Sum_i8_0_0_1v@rel32@lo+4
	s_addc_u32 s7, s7, _Z45ncclDevFunc_AllGather_PAT_SIMPLE_Sum_i8_0_0_1v@rel32@hi+12
	s_swappc_b64 s[30:31], s[6:7]
	s_mov_b64 s[4:5], 0
.LBB0_399:                              ;   in Loop: Header=BB0_84 Depth=1
	s_andn2_b64 vcc, exec, s[4:5]
	s_cbranch_vccnz .LBB0_401
; %bb.400:                              ;   in Loop: Header=BB0_84 Depth=1
	s_add_u32 s8, s36, 0x1000
	s_addc_u32 s9, s37, 0
	s_mov_b64 s[4:5], s[38:39]
	s_mov_b64 s[10:11], s[34:35]
	s_mov_b32 s12, s45
	s_mov_b32 s13, s44
	;; [unrolled: 1-line block ×3, first 2 shown]
	v_mov_b32_e32 v31, v40
	s_getpc_b64 s[6:7]
	s_add_u32 s6, s6, _Z41ncclDevFunc_AllGather_PAT_LL_Sum_i8_0_0_1v@rel32@lo+4
	s_addc_u32 s7, s7, _Z41ncclDevFunc_AllGather_PAT_LL_Sum_i8_0_0_1v@rel32@hi+12
	s_swappc_b64 s[30:31], s[6:7]
.LBB0_401:                              ;   in Loop: Header=BB0_84 Depth=1
	s_mov_b64 s[4:5], 0
.LBB0_402:                              ;   in Loop: Header=BB0_84 Depth=1
	s_andn2_b64 vcc, exec, s[4:5]
	s_cbranch_vccnz .LBB0_414
; %bb.403:                              ;   in Loop: Header=BB0_84 Depth=1
	s_cmp_gt_u32 s53, 45
	s_mov_b64 s[4:5], -1
	s_cbranch_scc0 .LBB0_409
; %bb.404:                              ;   in Loop: Header=BB0_84 Depth=1
	s_cmp_lg_u32 s53, 46
	s_cbranch_scc0 .LBB0_406
; %bb.405:                              ;   in Loop: Header=BB0_84 Depth=1
	s_add_u32 s8, s36, 0x1000
	s_addc_u32 s9, s37, 0
	s_mov_b64 s[4:5], s[38:39]
	s_mov_b64 s[10:11], s[34:35]
	s_mov_b32 s12, s45
	s_mov_b32 s13, s44
	;; [unrolled: 1-line block ×3, first 2 shown]
	v_mov_b32_e32 v31, v40
	s_getpc_b64 s[6:7]
	s_add_u32 s6, s6, _Z46ncclDevFunc_AllGather_RING_SIMPLE_Sum_i8_0_0_1v@rel32@lo+4
	s_addc_u32 s7, s7, _Z46ncclDevFunc_AllGather_RING_SIMPLE_Sum_i8_0_0_1v@rel32@hi+12
	s_swappc_b64 s[30:31], s[6:7]
	s_mov_b64 s[4:5], 0
.LBB0_406:                              ;   in Loop: Header=BB0_84 Depth=1
	s_andn2_b64 vcc, exec, s[4:5]
	s_cbranch_vccnz .LBB0_408
; %bb.407:                              ;   in Loop: Header=BB0_84 Depth=1
	s_add_u32 s8, s36, 0x1000
	s_addc_u32 s9, s37, 0
	s_mov_b64 s[4:5], s[38:39]
	s_mov_b64 s[10:11], s[34:35]
	s_mov_b32 s12, s45
	s_mov_b32 s13, s44
	;; [unrolled: 1-line block ×3, first 2 shown]
	v_mov_b32_e32 v31, v40
	s_getpc_b64 s[6:7]
	s_add_u32 s6, s6, _Z42ncclDevFunc_AllGather_RING_LL_Sum_i8_0_0_1v@rel32@lo+4
	s_addc_u32 s7, s7, _Z42ncclDevFunc_AllGather_RING_LL_Sum_i8_0_0_1v@rel32@hi+12
	s_swappc_b64 s[30:31], s[6:7]
.LBB0_408:                              ;   in Loop: Header=BB0_84 Depth=1
	s_mov_b64 s[4:5], 0
.LBB0_409:                              ;   in Loop: Header=BB0_84 Depth=1
	s_andn2_b64 vcc, exec, s[4:5]
	s_cbranch_vccnz .LBB0_414
; %bb.410:                              ;   in Loop: Header=BB0_84 Depth=1
	s_cmp_eq_u32 s53, 45
	s_mov_b64 s[4:5], -1
	s_cbranch_scc1 .LBB0_412
; %bb.411:                              ;   in Loop: Header=BB0_84 Depth=1
	s_add_u32 s8, s36, 0x1000
	s_addc_u32 s9, s37, 0
	s_mov_b64 s[4:5], s[38:39]
	s_mov_b64 s[10:11], s[34:35]
	s_mov_b32 s12, s45
	s_mov_b32 s13, s44
	;; [unrolled: 1-line block ×3, first 2 shown]
	v_mov_b32_e32 v31, v40
	s_getpc_b64 s[6:7]
	s_add_u32 s6, s6, _Z51ncclDevFunc_Reduce_RING_SIMPLE_SumPostDiv_u32_0_0_1v@rel32@lo+4
	s_addc_u32 s7, s7, _Z51ncclDevFunc_Reduce_RING_SIMPLE_SumPostDiv_u32_0_0_1v@rel32@hi+12
	s_swappc_b64 s[30:31], s[6:7]
	s_mov_b64 s[4:5], 0
.LBB0_412:                              ;   in Loop: Header=BB0_84 Depth=1
	s_andn2_b64 vcc, exec, s[4:5]
	s_cbranch_vccnz .LBB0_414
; %bb.413:                              ;   in Loop: Header=BB0_84 Depth=1
	s_add_u32 s8, s36, 0x1000
	s_addc_u32 s9, s37, 0
	s_mov_b64 s[4:5], s[38:39]
	s_mov_b64 s[10:11], s[34:35]
	s_mov_b32 s12, s45
	s_mov_b32 s13, s44
	;; [unrolled: 1-line block ×3, first 2 shown]
	v_mov_b32_e32 v31, v40
	s_getpc_b64 s[6:7]
	s_add_u32 s6, s6, _Z51ncclDevFunc_Reduce_RING_SIMPLE_SumPostDiv_u64_0_0_1v@rel32@lo+4
	s_addc_u32 s7, s7, _Z51ncclDevFunc_Reduce_RING_SIMPLE_SumPostDiv_u64_0_0_1v@rel32@hi+12
	s_swappc_b64 s[30:31], s[6:7]
.LBB0_414:                              ;   in Loop: Header=BB0_84 Depth=1
	s_mov_b64 s[4:5], 0
.LBB0_415:                              ;   in Loop: Header=BB0_84 Depth=1
	s_andn2_b64 vcc, exec, s[4:5]
	s_cbranch_vccnz .LBB0_570
; %bb.416:                              ;   in Loop: Header=BB0_84 Depth=1
	s_cmp_gt_u32 s53, 21
	s_mov_b64 s[4:5], -1
	s_cbranch_scc0 .LBB0_495
; %bb.417:                              ;   in Loop: Header=BB0_84 Depth=1
	s_cmp_gt_u32 s53, 32
	s_cbranch_scc0 .LBB0_456
; %bb.418:                              ;   in Loop: Header=BB0_84 Depth=1
	s_cmp_gt_u32 s53, 37
	;; [unrolled: 3-line block ×3, first 2 shown]
	s_cbranch_scc0 .LBB0_429
; %bb.420:                              ;   in Loop: Header=BB0_84 Depth=1
	v_cmp_lt_i16_e64 s[6:7], s53, 42
	s_and_b64 vcc, exec, s[6:7]
	s_cbranch_vccnz .LBB0_426
; %bb.421:                              ;   in Loop: Header=BB0_84 Depth=1
	v_cmp_ne_u16_e64 s[6:7], s53, 42
	s_and_b64 vcc, exec, s[6:7]
	s_cbranch_vccz .LBB0_423
; %bb.422:                              ;   in Loop: Header=BB0_84 Depth=1
	s_add_u32 s8, s36, 0x1000
	s_addc_u32 s9, s37, 0
	s_mov_b64 s[4:5], s[38:39]
	s_mov_b64 s[10:11], s[34:35]
	s_mov_b32 s12, s45
	s_mov_b32 s13, s44
	;; [unrolled: 1-line block ×3, first 2 shown]
	v_mov_b32_e32 v31, v40
	s_getpc_b64 s[6:7]
	s_add_u32 s6, s6, _Z50ncclDevFunc_Reduce_RING_SIMPLE_SumPostDiv_u8_0_0_1v@rel32@lo+4
	s_addc_u32 s7, s7, _Z50ncclDevFunc_Reduce_RING_SIMPLE_SumPostDiv_u8_0_0_1v@rel32@hi+12
	s_swappc_b64 s[30:31], s[6:7]
	s_mov_b64 s[4:5], 0
.LBB0_423:                              ;   in Loop: Header=BB0_84 Depth=1
	s_andn2_b64 vcc, exec, s[4:5]
	s_cbranch_vccnz .LBB0_425
; %bb.424:                              ;   in Loop: Header=BB0_84 Depth=1
	s_add_u32 s8, s36, 0x1000
	s_addc_u32 s9, s37, 0
	s_mov_b64 s[4:5], s[38:39]
	s_mov_b64 s[10:11], s[34:35]
	s_mov_b32 s12, s45
	s_mov_b32 s13, s44
	;; [unrolled: 1-line block ×3, first 2 shown]
	v_mov_b32_e32 v31, v40
	s_getpc_b64 s[6:7]
	s_add_u32 s6, s6, _Z53ncclDevFunc_Reduce_RING_SIMPLE_PreMulSum_f8e5m2_0_0_1v@rel32@lo+4
	s_addc_u32 s7, s7, _Z53ncclDevFunc_Reduce_RING_SIMPLE_PreMulSum_f8e5m2_0_0_1v@rel32@hi+12
	s_swappc_b64 s[30:31], s[6:7]
.LBB0_425:                              ;   in Loop: Header=BB0_84 Depth=1
	s_mov_b64 s[4:5], 0
.LBB0_426:                              ;   in Loop: Header=BB0_84 Depth=1
	s_andn2_b64 vcc, exec, s[4:5]
	s_cbranch_vccnz .LBB0_428
; %bb.427:                              ;   in Loop: Header=BB0_84 Depth=1
	s_add_u32 s8, s36, 0x1000
	s_addc_u32 s9, s37, 0
	s_mov_b64 s[4:5], s[38:39]
	s_mov_b64 s[10:11], s[34:35]
	s_mov_b32 s12, s45
	s_mov_b32 s13, s44
	;; [unrolled: 1-line block ×3, first 2 shown]
	v_mov_b32_e32 v31, v40
	s_getpc_b64 s[6:7]
	s_add_u32 s6, s6, _Z53ncclDevFunc_Reduce_RING_SIMPLE_PreMulSum_f8e4m3_0_0_1v@rel32@lo+4
	s_addc_u32 s7, s7, _Z53ncclDevFunc_Reduce_RING_SIMPLE_PreMulSum_f8e4m3_0_0_1v@rel32@hi+12
	s_swappc_b64 s[30:31], s[6:7]
.LBB0_428:                              ;   in Loop: Header=BB0_84 Depth=1
	s_mov_b64 s[4:5], 0
.LBB0_429:                              ;   in Loop: Header=BB0_84 Depth=1
	s_and_b64 vcc, exec, s[4:5]
	s_cbranch_vccz .LBB0_438
; %bb.430:                              ;   in Loop: Header=BB0_84 Depth=1
	v_cmp_lt_i16_e64 s[6:7], s53, 39
	s_mov_b64 s[4:5], -1
	s_and_b64 vcc, exec, s[6:7]
	s_cbranch_vccnz .LBB0_436
; %bb.431:                              ;   in Loop: Header=BB0_84 Depth=1
	v_cmp_ne_u16_e64 s[6:7], s53, 39
	s_and_b64 vcc, exec, s[6:7]
	s_cbranch_vccz .LBB0_433
; %bb.432:                              ;   in Loop: Header=BB0_84 Depth=1
	s_add_u32 s8, s36, 0x1000
	s_addc_u32 s9, s37, 0
	s_mov_b64 s[4:5], s[38:39]
	s_mov_b64 s[10:11], s[34:35]
	s_mov_b32 s12, s45
	s_mov_b32 s13, s44
	;; [unrolled: 1-line block ×3, first 2 shown]
	v_mov_b32_e32 v31, v40
	s_getpc_b64 s[6:7]
	s_add_u32 s6, s6, _Z51ncclDevFunc_Reduce_RING_SIMPLE_PreMulSum_bf16_0_1_1v@rel32@lo+4
	s_addc_u32 s7, s7, _Z51ncclDevFunc_Reduce_RING_SIMPLE_PreMulSum_bf16_0_1_1v@rel32@hi+12
	s_swappc_b64 s[30:31], s[6:7]
	s_mov_b64 s[4:5], 0
.LBB0_433:                              ;   in Loop: Header=BB0_84 Depth=1
	s_andn2_b64 vcc, exec, s[4:5]
	s_cbranch_vccnz .LBB0_435
; %bb.434:                              ;   in Loop: Header=BB0_84 Depth=1
	s_add_u32 s8, s36, 0x1000
	s_addc_u32 s9, s37, 0
	s_mov_b64 s[4:5], s[38:39]
	s_mov_b64 s[10:11], s[34:35]
	s_mov_b32 s12, s45
	s_mov_b32 s13, s44
	;; [unrolled: 1-line block ×3, first 2 shown]
	v_mov_b32_e32 v31, v40
	s_getpc_b64 s[6:7]
	s_add_u32 s6, s6, _Z51ncclDevFunc_Reduce_RING_SIMPLE_PreMulSum_bf16_0_0_1v@rel32@lo+4
	s_addc_u32 s7, s7, _Z51ncclDevFunc_Reduce_RING_SIMPLE_PreMulSum_bf16_0_0_1v@rel32@hi+12
	s_swappc_b64 s[30:31], s[6:7]
.LBB0_435:                              ;   in Loop: Header=BB0_84 Depth=1
	s_mov_b64 s[4:5], 0
.LBB0_436:                              ;   in Loop: Header=BB0_84 Depth=1
	s_andn2_b64 vcc, exec, s[4:5]
	s_cbranch_vccnz .LBB0_438
; %bb.437:                              ;   in Loop: Header=BB0_84 Depth=1
	s_add_u32 s8, s36, 0x1000
	s_addc_u32 s9, s37, 0
	s_mov_b64 s[4:5], s[38:39]
	s_mov_b64 s[10:11], s[34:35]
	s_mov_b32 s12, s45
	s_mov_b32 s13, s44
	;; [unrolled: 1-line block ×3, first 2 shown]
	v_mov_b32_e32 v31, v40
	s_getpc_b64 s[6:7]
	s_add_u32 s6, s6, _Z50ncclDevFunc_Reduce_RING_SIMPLE_PreMulSum_f64_0_0_1v@rel32@lo+4
	s_addc_u32 s7, s7, _Z50ncclDevFunc_Reduce_RING_SIMPLE_PreMulSum_f64_0_0_1v@rel32@hi+12
	s_swappc_b64 s[30:31], s[6:7]
.LBB0_438:                              ;   in Loop: Header=BB0_84 Depth=1
	s_mov_b64 s[4:5], 0
.LBB0_439:                              ;   in Loop: Header=BB0_84 Depth=1
	s_andn2_b64 vcc, exec, s[4:5]
	s_cbranch_vccnz .LBB0_455
; %bb.440:                              ;   in Loop: Header=BB0_84 Depth=1
	s_cmp_gt_u32 s53, 34
	s_mov_b64 s[4:5], -1
	s_cbranch_scc0 .LBB0_450
; %bb.441:                              ;   in Loop: Header=BB0_84 Depth=1
	v_cmp_lt_i16_e64 s[6:7], s53, 36
	s_and_b64 vcc, exec, s[6:7]
	s_cbranch_vccnz .LBB0_447
; %bb.442:                              ;   in Loop: Header=BB0_84 Depth=1
	v_cmp_ne_u16_e64 s[6:7], s53, 36
	s_and_b64 vcc, exec, s[6:7]
	s_cbranch_vccz .LBB0_444
; %bb.443:                              ;   in Loop: Header=BB0_84 Depth=1
	s_add_u32 s8, s36, 0x1000
	s_addc_u32 s9, s37, 0
	s_mov_b64 s[4:5], s[38:39]
	s_mov_b64 s[10:11], s[34:35]
	s_mov_b32 s12, s45
	s_mov_b32 s13, s44
	;; [unrolled: 1-line block ×3, first 2 shown]
	v_mov_b32_e32 v31, v40
	s_getpc_b64 s[6:7]
	s_add_u32 s6, s6, _Z50ncclDevFunc_Reduce_RING_SIMPLE_PreMulSum_f32_0_0_1v@rel32@lo+4
	s_addc_u32 s7, s7, _Z50ncclDevFunc_Reduce_RING_SIMPLE_PreMulSum_f32_0_0_1v@rel32@hi+12
	s_swappc_b64 s[30:31], s[6:7]
	s_mov_b64 s[4:5], 0
.LBB0_444:                              ;   in Loop: Header=BB0_84 Depth=1
	s_andn2_b64 vcc, exec, s[4:5]
	s_cbranch_vccnz .LBB0_446
; %bb.445:                              ;   in Loop: Header=BB0_84 Depth=1
	s_add_u32 s8, s36, 0x1000
	s_addc_u32 s9, s37, 0
	s_mov_b64 s[4:5], s[38:39]
	s_mov_b64 s[10:11], s[34:35]
	s_mov_b32 s12, s45
	s_mov_b32 s13, s44
	;; [unrolled: 1-line block ×3, first 2 shown]
	v_mov_b32_e32 v31, v40
	s_getpc_b64 s[6:7]
	s_add_u32 s6, s6, _Z50ncclDevFunc_Reduce_RING_SIMPLE_PreMulSum_f16_0_0_1v@rel32@lo+4
	s_addc_u32 s7, s7, _Z50ncclDevFunc_Reduce_RING_SIMPLE_PreMulSum_f16_0_0_1v@rel32@hi+12
	s_swappc_b64 s[30:31], s[6:7]
.LBB0_446:                              ;   in Loop: Header=BB0_84 Depth=1
	s_mov_b64 s[4:5], 0
.LBB0_447:                              ;   in Loop: Header=BB0_84 Depth=1
	s_andn2_b64 vcc, exec, s[4:5]
	s_cbranch_vccnz .LBB0_449
; %bb.448:                              ;   in Loop: Header=BB0_84 Depth=1
	s_add_u32 s8, s36, 0x1000
	s_addc_u32 s9, s37, 0
	s_mov_b64 s[4:5], s[38:39]
	s_mov_b64 s[10:11], s[34:35]
	s_mov_b32 s12, s45
	s_mov_b32 s13, s44
	;; [unrolled: 1-line block ×3, first 2 shown]
	v_mov_b32_e32 v31, v40
	s_getpc_b64 s[6:7]
	s_add_u32 s6, s6, _Z50ncclDevFunc_Reduce_RING_SIMPLE_PreMulSum_u64_0_0_1v@rel32@lo+4
	s_addc_u32 s7, s7, _Z50ncclDevFunc_Reduce_RING_SIMPLE_PreMulSum_u64_0_0_1v@rel32@hi+12
	s_swappc_b64 s[30:31], s[6:7]
.LBB0_449:                              ;   in Loop: Header=BB0_84 Depth=1
	s_mov_b64 s[4:5], 0
.LBB0_450:                              ;   in Loop: Header=BB0_84 Depth=1
	s_and_b64 vcc, exec, s[4:5]
	s_cbranch_vccz .LBB0_455
; %bb.451:                              ;   in Loop: Header=BB0_84 Depth=1
	s_cmp_eq_u32 s53, 34
	s_mov_b64 s[4:5], -1
	s_cbranch_scc1 .LBB0_453
; %bb.452:                              ;   in Loop: Header=BB0_84 Depth=1
	s_add_u32 s8, s36, 0x1000
	s_addc_u32 s9, s37, 0
	s_mov_b64 s[4:5], s[38:39]
	s_mov_b64 s[10:11], s[34:35]
	s_mov_b32 s12, s45
	s_mov_b32 s13, s44
	;; [unrolled: 1-line block ×3, first 2 shown]
	v_mov_b32_e32 v31, v40
	s_getpc_b64 s[6:7]
	s_add_u32 s6, s6, _Z49ncclDevFunc_Reduce_RING_SIMPLE_PreMulSum_u8_0_0_1v@rel32@lo+4
	s_addc_u32 s7, s7, _Z49ncclDevFunc_Reduce_RING_SIMPLE_PreMulSum_u8_0_0_1v@rel32@hi+12
	s_swappc_b64 s[30:31], s[6:7]
	s_mov_b64 s[4:5], 0
.LBB0_453:                              ;   in Loop: Header=BB0_84 Depth=1
	s_andn2_b64 vcc, exec, s[4:5]
	s_cbranch_vccnz .LBB0_455
; %bb.454:                              ;   in Loop: Header=BB0_84 Depth=1
	s_add_u32 s8, s36, 0x1000
	s_addc_u32 s9, s37, 0
	s_mov_b64 s[4:5], s[38:39]
	s_mov_b64 s[10:11], s[34:35]
	s_mov_b32 s12, s45
	s_mov_b32 s13, s44
	s_mov_b32 s14, s33
	v_mov_b32_e32 v31, v40
	s_getpc_b64 s[6:7]
	s_add_u32 s6, s6, _Z50ncclDevFunc_Reduce_RING_SIMPLE_PreMulSum_u32_0_0_1v@rel32@lo+4
	s_addc_u32 s7, s7, _Z50ncclDevFunc_Reduce_RING_SIMPLE_PreMulSum_u32_0_0_1v@rel32@hi+12
	s_swappc_b64 s[30:31], s[6:7]
.LBB0_455:                              ;   in Loop: Header=BB0_84 Depth=1
	s_mov_b64 s[4:5], 0
.LBB0_456:                              ;   in Loop: Header=BB0_84 Depth=1
	s_andn2_b64 vcc, exec, s[4:5]
	s_cbranch_vccnz .LBB0_494
; %bb.457:                              ;   in Loop: Header=BB0_84 Depth=1
	s_cmp_gt_u32 s53, 26
	s_mov_b64 s[4:5], -1
	s_cbranch_scc0 .LBB0_478
; %bb.458:                              ;   in Loop: Header=BB0_84 Depth=1
	s_cmp_gt_u32 s53, 29
	s_cbranch_scc0 .LBB0_468
; %bb.459:                              ;   in Loop: Header=BB0_84 Depth=1
	v_cmp_lt_i16_e64 s[6:7], s53, 31
	s_and_b64 vcc, exec, s[6:7]
	s_cbranch_vccnz .LBB0_465
; %bb.460:                              ;   in Loop: Header=BB0_84 Depth=1
	v_cmp_ne_u16_e64 s[6:7], s53, 31
	s_and_b64 vcc, exec, s[6:7]
	s_cbranch_vccz .LBB0_462
; %bb.461:                              ;   in Loop: Header=BB0_84 Depth=1
	s_add_u32 s8, s36, 0x1000
	s_addc_u32 s9, s37, 0
	s_mov_b64 s[4:5], s[38:39]
	s_mov_b64 s[10:11], s[34:35]
	s_mov_b32 s12, s45
	s_mov_b32 s13, s44
	;; [unrolled: 1-line block ×3, first 2 shown]
	v_mov_b32_e32 v31, v40
	s_getpc_b64 s[6:7]
	s_add_u32 s6, s6, _Z50ncclDevFunc_Reduce_RING_SIMPLE_MinMax_f8e5m2_0_0_1v@rel32@lo+4
	s_addc_u32 s7, s7, _Z50ncclDevFunc_Reduce_RING_SIMPLE_MinMax_f8e5m2_0_0_1v@rel32@hi+12
	s_swappc_b64 s[30:31], s[6:7]
	s_mov_b64 s[4:5], 0
.LBB0_462:                              ;   in Loop: Header=BB0_84 Depth=1
	s_andn2_b64 vcc, exec, s[4:5]
	s_cbranch_vccnz .LBB0_464
; %bb.463:                              ;   in Loop: Header=BB0_84 Depth=1
	s_add_u32 s8, s36, 0x1000
	s_addc_u32 s9, s37, 0
	s_mov_b64 s[4:5], s[38:39]
	s_mov_b64 s[10:11], s[34:35]
	s_mov_b32 s12, s45
	s_mov_b32 s13, s44
	;; [unrolled: 1-line block ×3, first 2 shown]
	v_mov_b32_e32 v31, v40
	s_getpc_b64 s[6:7]
	s_add_u32 s6, s6, _Z50ncclDevFunc_Reduce_RING_SIMPLE_MinMax_f8e4m3_0_0_1v@rel32@lo+4
	s_addc_u32 s7, s7, _Z50ncclDevFunc_Reduce_RING_SIMPLE_MinMax_f8e4m3_0_0_1v@rel32@hi+12
	s_swappc_b64 s[30:31], s[6:7]
.LBB0_464:                              ;   in Loop: Header=BB0_84 Depth=1
	s_mov_b64 s[4:5], 0
.LBB0_465:                              ;   in Loop: Header=BB0_84 Depth=1
	s_andn2_b64 vcc, exec, s[4:5]
	s_cbranch_vccnz .LBB0_467
; %bb.466:                              ;   in Loop: Header=BB0_84 Depth=1
	s_add_u32 s8, s36, 0x1000
	s_addc_u32 s9, s37, 0
	s_mov_b64 s[4:5], s[38:39]
	s_mov_b64 s[10:11], s[34:35]
	s_mov_b32 s12, s45
	s_mov_b32 s13, s44
	;; [unrolled: 1-line block ×3, first 2 shown]
	v_mov_b32_e32 v31, v40
	s_getpc_b64 s[6:7]
	s_add_u32 s6, s6, _Z48ncclDevFunc_Reduce_RING_SIMPLE_MinMax_bf16_0_1_1v@rel32@lo+4
	s_addc_u32 s7, s7, _Z48ncclDevFunc_Reduce_RING_SIMPLE_MinMax_bf16_0_1_1v@rel32@hi+12
	s_swappc_b64 s[30:31], s[6:7]
.LBB0_467:                              ;   in Loop: Header=BB0_84 Depth=1
	s_mov_b64 s[4:5], 0
.LBB0_468:                              ;   in Loop: Header=BB0_84 Depth=1
	s_and_b64 vcc, exec, s[4:5]
	s_cbranch_vccz .LBB0_477
; %bb.469:                              ;   in Loop: Header=BB0_84 Depth=1
	v_cmp_lt_i16_e64 s[6:7], s53, 28
	s_mov_b64 s[4:5], -1
	s_and_b64 vcc, exec, s[6:7]
	s_cbranch_vccnz .LBB0_475
; %bb.470:                              ;   in Loop: Header=BB0_84 Depth=1
	v_cmp_ne_u16_e64 s[6:7], s53, 28
	s_and_b64 vcc, exec, s[6:7]
	s_cbranch_vccz .LBB0_472
; %bb.471:                              ;   in Loop: Header=BB0_84 Depth=1
	s_add_u32 s8, s36, 0x1000
	s_addc_u32 s9, s37, 0
	s_mov_b64 s[4:5], s[38:39]
	s_mov_b64 s[10:11], s[34:35]
	s_mov_b32 s12, s45
	s_mov_b32 s13, s44
	;; [unrolled: 1-line block ×3, first 2 shown]
	v_mov_b32_e32 v31, v40
	s_getpc_b64 s[6:7]
	s_add_u32 s6, s6, _Z48ncclDevFunc_Reduce_RING_SIMPLE_MinMax_bf16_0_0_1v@rel32@lo+4
	s_addc_u32 s7, s7, _Z48ncclDevFunc_Reduce_RING_SIMPLE_MinMax_bf16_0_0_1v@rel32@hi+12
	s_swappc_b64 s[30:31], s[6:7]
	s_mov_b64 s[4:5], 0
.LBB0_472:                              ;   in Loop: Header=BB0_84 Depth=1
	s_andn2_b64 vcc, exec, s[4:5]
	s_cbranch_vccnz .LBB0_474
; %bb.473:                              ;   in Loop: Header=BB0_84 Depth=1
	s_add_u32 s8, s36, 0x1000
	s_addc_u32 s9, s37, 0
	s_mov_b64 s[4:5], s[38:39]
	s_mov_b64 s[10:11], s[34:35]
	s_mov_b32 s12, s45
	s_mov_b32 s13, s44
	;; [unrolled: 1-line block ×3, first 2 shown]
	v_mov_b32_e32 v31, v40
	s_getpc_b64 s[6:7]
	s_add_u32 s6, s6, _Z47ncclDevFunc_Reduce_RING_SIMPLE_MinMax_f64_0_0_1v@rel32@lo+4
	s_addc_u32 s7, s7, _Z47ncclDevFunc_Reduce_RING_SIMPLE_MinMax_f64_0_0_1v@rel32@hi+12
	s_swappc_b64 s[30:31], s[6:7]
.LBB0_474:                              ;   in Loop: Header=BB0_84 Depth=1
	s_mov_b64 s[4:5], 0
.LBB0_475:                              ;   in Loop: Header=BB0_84 Depth=1
	s_andn2_b64 vcc, exec, s[4:5]
	s_cbranch_vccnz .LBB0_477
; %bb.476:                              ;   in Loop: Header=BB0_84 Depth=1
	s_add_u32 s8, s36, 0x1000
	s_addc_u32 s9, s37, 0
	s_mov_b64 s[4:5], s[38:39]
	s_mov_b64 s[10:11], s[34:35]
	s_mov_b32 s12, s45
	s_mov_b32 s13, s44
	;; [unrolled: 1-line block ×3, first 2 shown]
	v_mov_b32_e32 v31, v40
	s_getpc_b64 s[6:7]
	s_add_u32 s6, s6, _Z47ncclDevFunc_Reduce_RING_SIMPLE_MinMax_f32_0_0_1v@rel32@lo+4
	s_addc_u32 s7, s7, _Z47ncclDevFunc_Reduce_RING_SIMPLE_MinMax_f32_0_0_1v@rel32@hi+12
	s_swappc_b64 s[30:31], s[6:7]
.LBB0_477:                              ;   in Loop: Header=BB0_84 Depth=1
	s_mov_b64 s[4:5], 0
.LBB0_478:                              ;   in Loop: Header=BB0_84 Depth=1
	s_andn2_b64 vcc, exec, s[4:5]
	s_cbranch_vccnz .LBB0_494
; %bb.479:                              ;   in Loop: Header=BB0_84 Depth=1
	s_cmp_gt_u32 s53, 23
	s_mov_b64 s[4:5], -1
	s_cbranch_scc0 .LBB0_489
; %bb.480:                              ;   in Loop: Header=BB0_84 Depth=1
	v_cmp_lt_i16_e64 s[6:7], s53, 25
	s_and_b64 vcc, exec, s[6:7]
	s_cbranch_vccnz .LBB0_486
; %bb.481:                              ;   in Loop: Header=BB0_84 Depth=1
	v_cmp_ne_u16_e64 s[6:7], s53, 25
	s_and_b64 vcc, exec, s[6:7]
	s_cbranch_vccz .LBB0_483
; %bb.482:                              ;   in Loop: Header=BB0_84 Depth=1
	s_add_u32 s8, s36, 0x1000
	s_addc_u32 s9, s37, 0
	s_mov_b64 s[4:5], s[38:39]
	s_mov_b64 s[10:11], s[34:35]
	s_mov_b32 s12, s45
	s_mov_b32 s13, s44
	;; [unrolled: 1-line block ×3, first 2 shown]
	v_mov_b32_e32 v31, v40
	s_getpc_b64 s[6:7]
	s_add_u32 s6, s6, _Z47ncclDevFunc_Reduce_RING_SIMPLE_MinMax_f16_0_0_1v@rel32@lo+4
	s_addc_u32 s7, s7, _Z47ncclDevFunc_Reduce_RING_SIMPLE_MinMax_f16_0_0_1v@rel32@hi+12
	s_swappc_b64 s[30:31], s[6:7]
	s_mov_b64 s[4:5], 0
.LBB0_483:                              ;   in Loop: Header=BB0_84 Depth=1
	s_andn2_b64 vcc, exec, s[4:5]
	s_cbranch_vccnz .LBB0_485
; %bb.484:                              ;   in Loop: Header=BB0_84 Depth=1
	s_add_u32 s8, s36, 0x1000
	s_addc_u32 s9, s37, 0
	s_mov_b64 s[4:5], s[38:39]
	s_mov_b64 s[10:11], s[34:35]
	s_mov_b32 s12, s45
	s_mov_b32 s13, s44
	;; [unrolled: 1-line block ×3, first 2 shown]
	v_mov_b32_e32 v31, v40
	s_getpc_b64 s[6:7]
	s_add_u32 s6, s6, _Z47ncclDevFunc_Reduce_RING_SIMPLE_MinMax_u64_0_0_1v@rel32@lo+4
	s_addc_u32 s7, s7, _Z47ncclDevFunc_Reduce_RING_SIMPLE_MinMax_u64_0_0_1v@rel32@hi+12
	s_swappc_b64 s[30:31], s[6:7]
.LBB0_485:                              ;   in Loop: Header=BB0_84 Depth=1
	s_mov_b64 s[4:5], 0
.LBB0_486:                              ;   in Loop: Header=BB0_84 Depth=1
	s_andn2_b64 vcc, exec, s[4:5]
	s_cbranch_vccnz .LBB0_488
; %bb.487:                              ;   in Loop: Header=BB0_84 Depth=1
	s_add_u32 s8, s36, 0x1000
	s_addc_u32 s9, s37, 0
	s_mov_b64 s[4:5], s[38:39]
	s_mov_b64 s[10:11], s[34:35]
	s_mov_b32 s12, s45
	s_mov_b32 s13, s44
	;; [unrolled: 1-line block ×3, first 2 shown]
	v_mov_b32_e32 v31, v40
	s_getpc_b64 s[6:7]
	s_add_u32 s6, s6, _Z47ncclDevFunc_Reduce_RING_SIMPLE_MinMax_u32_0_0_1v@rel32@lo+4
	s_addc_u32 s7, s7, _Z47ncclDevFunc_Reduce_RING_SIMPLE_MinMax_u32_0_0_1v@rel32@hi+12
	s_swappc_b64 s[30:31], s[6:7]
.LBB0_488:                              ;   in Loop: Header=BB0_84 Depth=1
	s_mov_b64 s[4:5], 0
.LBB0_489:                              ;   in Loop: Header=BB0_84 Depth=1
	s_and_b64 vcc, exec, s[4:5]
	s_cbranch_vccz .LBB0_494
; %bb.490:                              ;   in Loop: Header=BB0_84 Depth=1
	s_cmp_eq_u32 s53, 23
	s_mov_b64 s[4:5], -1
	s_cbranch_scc1 .LBB0_492
; %bb.491:                              ;   in Loop: Header=BB0_84 Depth=1
	s_add_u32 s8, s36, 0x1000
	s_addc_u32 s9, s37, 0
	s_mov_b64 s[4:5], s[38:39]
	s_mov_b64 s[10:11], s[34:35]
	s_mov_b32 s12, s45
	s_mov_b32 s13, s44
	;; [unrolled: 1-line block ×3, first 2 shown]
	v_mov_b32_e32 v31, v40
	s_getpc_b64 s[6:7]
	s_add_u32 s6, s6, _Z48ncclDevFunc_Reduce_RING_SIMPLE_Prod_f8e5m2_0_0_1v@rel32@lo+4
	s_addc_u32 s7, s7, _Z48ncclDevFunc_Reduce_RING_SIMPLE_Prod_f8e5m2_0_0_1v@rel32@hi+12
	s_swappc_b64 s[30:31], s[6:7]
	s_mov_b64 s[4:5], 0
.LBB0_492:                              ;   in Loop: Header=BB0_84 Depth=1
	s_andn2_b64 vcc, exec, s[4:5]
	s_cbranch_vccnz .LBB0_494
; %bb.493:                              ;   in Loop: Header=BB0_84 Depth=1
	s_add_u32 s8, s36, 0x1000
	s_addc_u32 s9, s37, 0
	s_mov_b64 s[4:5], s[38:39]
	s_mov_b64 s[10:11], s[34:35]
	s_mov_b32 s12, s45
	s_mov_b32 s13, s44
	;; [unrolled: 1-line block ×3, first 2 shown]
	v_mov_b32_e32 v31, v40
	s_getpc_b64 s[6:7]
	s_add_u32 s6, s6, _Z46ncclDevFunc_Reduce_RING_SIMPLE_MinMax_u8_0_0_1v@rel32@lo+4
	s_addc_u32 s7, s7, _Z46ncclDevFunc_Reduce_RING_SIMPLE_MinMax_u8_0_0_1v@rel32@hi+12
	s_swappc_b64 s[30:31], s[6:7]
.LBB0_494:                              ;   in Loop: Header=BB0_84 Depth=1
	s_mov_b64 s[4:5], 0
.LBB0_495:                              ;   in Loop: Header=BB0_84 Depth=1
	s_andn2_b64 vcc, exec, s[4:5]
	s_cbranch_vccnz .LBB0_570
; %bb.496:                              ;   in Loop: Header=BB0_84 Depth=1
	s_cmp_gt_u32 s53, 10
	s_mov_b64 s[4:5], -1
	s_cbranch_scc0 .LBB0_535
; %bb.497:                              ;   in Loop: Header=BB0_84 Depth=1
	s_cmp_gt_u32 s53, 15
	s_cbranch_scc0 .LBB0_518
; %bb.498:                              ;   in Loop: Header=BB0_84 Depth=1
	s_cmp_gt_u32 s53, 18
	s_cbranch_scc0 .LBB0_508
; %bb.499:                              ;   in Loop: Header=BB0_84 Depth=1
	v_cmp_lt_i16_e64 s[6:7], s53, 20
	s_and_b64 vcc, exec, s[6:7]
	s_cbranch_vccnz .LBB0_505
; %bb.500:                              ;   in Loop: Header=BB0_84 Depth=1
	v_cmp_ne_u16_e64 s[6:7], s53, 20
	s_and_b64 vcc, exec, s[6:7]
	s_cbranch_vccz .LBB0_502
; %bb.501:                              ;   in Loop: Header=BB0_84 Depth=1
	s_add_u32 s8, s36, 0x1000
	s_addc_u32 s9, s37, 0
	s_mov_b64 s[4:5], s[38:39]
	s_mov_b64 s[10:11], s[34:35]
	s_mov_b32 s12, s45
	s_mov_b32 s13, s44
	;; [unrolled: 1-line block ×3, first 2 shown]
	v_mov_b32_e32 v31, v40
	s_getpc_b64 s[6:7]
	s_add_u32 s6, s6, _Z48ncclDevFunc_Reduce_RING_SIMPLE_Prod_f8e4m3_0_0_1v@rel32@lo+4
	s_addc_u32 s7, s7, _Z48ncclDevFunc_Reduce_RING_SIMPLE_Prod_f8e4m3_0_0_1v@rel32@hi+12
	s_swappc_b64 s[30:31], s[6:7]
	s_mov_b64 s[4:5], 0
.LBB0_502:                              ;   in Loop: Header=BB0_84 Depth=1
	s_andn2_b64 vcc, exec, s[4:5]
	s_cbranch_vccnz .LBB0_504
; %bb.503:                              ;   in Loop: Header=BB0_84 Depth=1
	s_add_u32 s8, s36, 0x1000
	s_addc_u32 s9, s37, 0
	s_mov_b64 s[4:5], s[38:39]
	s_mov_b64 s[10:11], s[34:35]
	s_mov_b32 s12, s45
	s_mov_b32 s13, s44
	;; [unrolled: 1-line block ×3, first 2 shown]
	v_mov_b32_e32 v31, v40
	s_getpc_b64 s[6:7]
	s_add_u32 s6, s6, _Z46ncclDevFunc_Reduce_RING_SIMPLE_Prod_bf16_0_1_1v@rel32@lo+4
	s_addc_u32 s7, s7, _Z46ncclDevFunc_Reduce_RING_SIMPLE_Prod_bf16_0_1_1v@rel32@hi+12
	s_swappc_b64 s[30:31], s[6:7]
.LBB0_504:                              ;   in Loop: Header=BB0_84 Depth=1
	s_mov_b64 s[4:5], 0
.LBB0_505:                              ;   in Loop: Header=BB0_84 Depth=1
	s_andn2_b64 vcc, exec, s[4:5]
	s_cbranch_vccnz .LBB0_507
; %bb.506:                              ;   in Loop: Header=BB0_84 Depth=1
	s_add_u32 s8, s36, 0x1000
	s_addc_u32 s9, s37, 0
	s_mov_b64 s[4:5], s[38:39]
	s_mov_b64 s[10:11], s[34:35]
	s_mov_b32 s12, s45
	s_mov_b32 s13, s44
	;; [unrolled: 1-line block ×3, first 2 shown]
	v_mov_b32_e32 v31, v40
	s_getpc_b64 s[6:7]
	s_add_u32 s6, s6, _Z46ncclDevFunc_Reduce_RING_SIMPLE_Prod_bf16_0_0_1v@rel32@lo+4
	s_addc_u32 s7, s7, _Z46ncclDevFunc_Reduce_RING_SIMPLE_Prod_bf16_0_0_1v@rel32@hi+12
	s_swappc_b64 s[30:31], s[6:7]
.LBB0_507:                              ;   in Loop: Header=BB0_84 Depth=1
	s_mov_b64 s[4:5], 0
.LBB0_508:                              ;   in Loop: Header=BB0_84 Depth=1
	s_and_b64 vcc, exec, s[4:5]
	s_cbranch_vccz .LBB0_517
; %bb.509:                              ;   in Loop: Header=BB0_84 Depth=1
	v_cmp_lt_i16_e64 s[6:7], s53, 17
	s_mov_b64 s[4:5], -1
	s_and_b64 vcc, exec, s[6:7]
	s_cbranch_vccnz .LBB0_515
; %bb.510:                              ;   in Loop: Header=BB0_84 Depth=1
	v_cmp_ne_u16_e64 s[6:7], s53, 17
	s_and_b64 vcc, exec, s[6:7]
	s_cbranch_vccz .LBB0_512
; %bb.511:                              ;   in Loop: Header=BB0_84 Depth=1
	s_add_u32 s8, s36, 0x1000
	s_addc_u32 s9, s37, 0
	s_mov_b64 s[4:5], s[38:39]
	s_mov_b64 s[10:11], s[34:35]
	s_mov_b32 s12, s45
	s_mov_b32 s13, s44
	s_mov_b32 s14, s33
	v_mov_b32_e32 v31, v40
	s_getpc_b64 s[6:7]
	s_add_u32 s6, s6, _Z45ncclDevFunc_Reduce_RING_SIMPLE_Prod_f64_0_0_1v@rel32@lo+4
	s_addc_u32 s7, s7, _Z45ncclDevFunc_Reduce_RING_SIMPLE_Prod_f64_0_0_1v@rel32@hi+12
	s_swappc_b64 s[30:31], s[6:7]
	s_mov_b64 s[4:5], 0
.LBB0_512:                              ;   in Loop: Header=BB0_84 Depth=1
	s_andn2_b64 vcc, exec, s[4:5]
	s_cbranch_vccnz .LBB0_514
; %bb.513:                              ;   in Loop: Header=BB0_84 Depth=1
	s_add_u32 s8, s36, 0x1000
	s_addc_u32 s9, s37, 0
	s_mov_b64 s[4:5], s[38:39]
	s_mov_b64 s[10:11], s[34:35]
	s_mov_b32 s12, s45
	s_mov_b32 s13, s44
	;; [unrolled: 1-line block ×3, first 2 shown]
	v_mov_b32_e32 v31, v40
	s_getpc_b64 s[6:7]
	s_add_u32 s6, s6, _Z45ncclDevFunc_Reduce_RING_SIMPLE_Prod_f32_0_0_1v@rel32@lo+4
	s_addc_u32 s7, s7, _Z45ncclDevFunc_Reduce_RING_SIMPLE_Prod_f32_0_0_1v@rel32@hi+12
	s_swappc_b64 s[30:31], s[6:7]
.LBB0_514:                              ;   in Loop: Header=BB0_84 Depth=1
	s_mov_b64 s[4:5], 0
.LBB0_515:                              ;   in Loop: Header=BB0_84 Depth=1
	s_andn2_b64 vcc, exec, s[4:5]
	s_cbranch_vccnz .LBB0_517
; %bb.516:                              ;   in Loop: Header=BB0_84 Depth=1
	s_add_u32 s8, s36, 0x1000
	s_addc_u32 s9, s37, 0
	s_mov_b64 s[4:5], s[38:39]
	s_mov_b64 s[10:11], s[34:35]
	s_mov_b32 s12, s45
	s_mov_b32 s13, s44
	;; [unrolled: 1-line block ×3, first 2 shown]
	v_mov_b32_e32 v31, v40
	s_getpc_b64 s[6:7]
	s_add_u32 s6, s6, _Z45ncclDevFunc_Reduce_RING_SIMPLE_Prod_f16_0_0_1v@rel32@lo+4
	s_addc_u32 s7, s7, _Z45ncclDevFunc_Reduce_RING_SIMPLE_Prod_f16_0_0_1v@rel32@hi+12
	s_swappc_b64 s[30:31], s[6:7]
.LBB0_517:                              ;   in Loop: Header=BB0_84 Depth=1
	s_mov_b64 s[4:5], 0
.LBB0_518:                              ;   in Loop: Header=BB0_84 Depth=1
	s_andn2_b64 vcc, exec, s[4:5]
	s_cbranch_vccnz .LBB0_534
; %bb.519:                              ;   in Loop: Header=BB0_84 Depth=1
	s_cmp_gt_u32 s53, 12
	s_mov_b64 s[4:5], -1
	s_cbranch_scc0 .LBB0_529
; %bb.520:                              ;   in Loop: Header=BB0_84 Depth=1
	v_cmp_lt_i16_e64 s[6:7], s53, 14
	s_and_b64 vcc, exec, s[6:7]
	s_cbranch_vccnz .LBB0_526
; %bb.521:                              ;   in Loop: Header=BB0_84 Depth=1
	v_cmp_ne_u16_e64 s[6:7], s53, 14
	s_and_b64 vcc, exec, s[6:7]
	s_cbranch_vccz .LBB0_523
; %bb.522:                              ;   in Loop: Header=BB0_84 Depth=1
	s_add_u32 s8, s36, 0x1000
	s_addc_u32 s9, s37, 0
	s_mov_b64 s[4:5], s[38:39]
	s_mov_b64 s[10:11], s[34:35]
	s_mov_b32 s12, s45
	s_mov_b32 s13, s44
	;; [unrolled: 1-line block ×3, first 2 shown]
	v_mov_b32_e32 v31, v40
	s_getpc_b64 s[6:7]
	s_add_u32 s6, s6, _Z45ncclDevFunc_Reduce_RING_SIMPLE_Prod_u64_0_0_1v@rel32@lo+4
	s_addc_u32 s7, s7, _Z45ncclDevFunc_Reduce_RING_SIMPLE_Prod_u64_0_0_1v@rel32@hi+12
	s_swappc_b64 s[30:31], s[6:7]
	s_mov_b64 s[4:5], 0
.LBB0_523:                              ;   in Loop: Header=BB0_84 Depth=1
	s_andn2_b64 vcc, exec, s[4:5]
	s_cbranch_vccnz .LBB0_525
; %bb.524:                              ;   in Loop: Header=BB0_84 Depth=1
	s_add_u32 s8, s36, 0x1000
	s_addc_u32 s9, s37, 0
	s_mov_b64 s[4:5], s[38:39]
	s_mov_b64 s[10:11], s[34:35]
	s_mov_b32 s12, s45
	s_mov_b32 s13, s44
	;; [unrolled: 1-line block ×3, first 2 shown]
	v_mov_b32_e32 v31, v40
	s_getpc_b64 s[6:7]
	s_add_u32 s6, s6, _Z45ncclDevFunc_Reduce_RING_SIMPLE_Prod_u32_0_0_1v@rel32@lo+4
	s_addc_u32 s7, s7, _Z45ncclDevFunc_Reduce_RING_SIMPLE_Prod_u32_0_0_1v@rel32@hi+12
	s_swappc_b64 s[30:31], s[6:7]
.LBB0_525:                              ;   in Loop: Header=BB0_84 Depth=1
	s_mov_b64 s[4:5], 0
.LBB0_526:                              ;   in Loop: Header=BB0_84 Depth=1
	s_andn2_b64 vcc, exec, s[4:5]
	s_cbranch_vccnz .LBB0_528
; %bb.527:                              ;   in Loop: Header=BB0_84 Depth=1
	s_add_u32 s8, s36, 0x1000
	s_addc_u32 s9, s37, 0
	s_mov_b64 s[4:5], s[38:39]
	s_mov_b64 s[10:11], s[34:35]
	s_mov_b32 s12, s45
	s_mov_b32 s13, s44
	;; [unrolled: 1-line block ×3, first 2 shown]
	v_mov_b32_e32 v31, v40
	s_getpc_b64 s[6:7]
	s_add_u32 s6, s6, _Z44ncclDevFunc_Reduce_RING_SIMPLE_Prod_u8_0_0_1v@rel32@lo+4
	s_addc_u32 s7, s7, _Z44ncclDevFunc_Reduce_RING_SIMPLE_Prod_u8_0_0_1v@rel32@hi+12
	s_swappc_b64 s[30:31], s[6:7]
.LBB0_528:                              ;   in Loop: Header=BB0_84 Depth=1
	s_mov_b64 s[4:5], 0
.LBB0_529:                              ;   in Loop: Header=BB0_84 Depth=1
	s_and_b64 vcc, exec, s[4:5]
	s_cbranch_vccz .LBB0_534
; %bb.530:                              ;   in Loop: Header=BB0_84 Depth=1
	s_cmp_eq_u32 s53, 12
	s_mov_b64 s[4:5], -1
	s_cbranch_scc1 .LBB0_532
; %bb.531:                              ;   in Loop: Header=BB0_84 Depth=1
	s_add_u32 s8, s36, 0x1000
	s_addc_u32 s9, s37, 0
	s_mov_b64 s[4:5], s[38:39]
	s_mov_b64 s[10:11], s[34:35]
	s_mov_b32 s12, s45
	s_mov_b32 s13, s44
	;; [unrolled: 1-line block ×3, first 2 shown]
	v_mov_b32_e32 v31, v40
	s_getpc_b64 s[6:7]
	s_add_u32 s6, s6, _Z47ncclDevFunc_Reduce_RING_SIMPLE_Sum_f8e4m3_0_0_1v@rel32@lo+4
	s_addc_u32 s7, s7, _Z47ncclDevFunc_Reduce_RING_SIMPLE_Sum_f8e4m3_0_0_1v@rel32@hi+12
	s_swappc_b64 s[30:31], s[6:7]
	s_mov_b64 s[4:5], 0
.LBB0_532:                              ;   in Loop: Header=BB0_84 Depth=1
	s_andn2_b64 vcc, exec, s[4:5]
	s_cbranch_vccnz .LBB0_534
; %bb.533:                              ;   in Loop: Header=BB0_84 Depth=1
	s_add_u32 s8, s36, 0x1000
	s_addc_u32 s9, s37, 0
	s_mov_b64 s[4:5], s[38:39]
	s_mov_b64 s[10:11], s[34:35]
	s_mov_b32 s12, s45
	s_mov_b32 s13, s44
	;; [unrolled: 1-line block ×3, first 2 shown]
	v_mov_b32_e32 v31, v40
	s_getpc_b64 s[6:7]
	s_add_u32 s6, s6, _Z47ncclDevFunc_Reduce_RING_SIMPLE_Sum_f8e5m2_0_0_1v@rel32@lo+4
	s_addc_u32 s7, s7, _Z47ncclDevFunc_Reduce_RING_SIMPLE_Sum_f8e5m2_0_0_1v@rel32@hi+12
	s_swappc_b64 s[30:31], s[6:7]
.LBB0_534:                              ;   in Loop: Header=BB0_84 Depth=1
	s_mov_b64 s[4:5], 0
.LBB0_535:                              ;   in Loop: Header=BB0_84 Depth=1
	s_andn2_b64 vcc, exec, s[4:5]
	s_cbranch_vccnz .LBB0_570
; %bb.536:                              ;   in Loop: Header=BB0_84 Depth=1
	s_cmp_gt_u32 s53, 4
	s_mov_b64 s[4:5], -1
	s_cbranch_scc0 .LBB0_557
; %bb.537:                              ;   in Loop: Header=BB0_84 Depth=1
	s_cmp_gt_u32 s53, 7
	s_cbranch_scc0 .LBB0_547
; %bb.538:                              ;   in Loop: Header=BB0_84 Depth=1
	v_cmp_lt_i16_e64 s[6:7], s53, 9
	s_and_b64 vcc, exec, s[6:7]
	s_cbranch_vccnz .LBB0_544
; %bb.539:                              ;   in Loop: Header=BB0_84 Depth=1
	v_cmp_ne_u16_e64 s[6:7], s53, 9
	s_and_b64 vcc, exec, s[6:7]
	s_cbranch_vccz .LBB0_541
; %bb.540:                              ;   in Loop: Header=BB0_84 Depth=1
	s_add_u32 s8, s36, 0x1000
	s_addc_u32 s9, s37, 0
	s_mov_b64 s[4:5], s[38:39]
	s_mov_b64 s[10:11], s[34:35]
	s_mov_b32 s12, s45
	s_mov_b32 s13, s44
	;; [unrolled: 1-line block ×3, first 2 shown]
	v_mov_b32_e32 v31, v40
	s_getpc_b64 s[6:7]
	s_add_u32 s6, s6, _Z45ncclDevFunc_Reduce_RING_SIMPLE_Sum_bf16_0_1_1v@rel32@lo+4
	s_addc_u32 s7, s7, _Z45ncclDevFunc_Reduce_RING_SIMPLE_Sum_bf16_0_1_1v@rel32@hi+12
	s_swappc_b64 s[30:31], s[6:7]
	s_mov_b64 s[4:5], 0
.LBB0_541:                              ;   in Loop: Header=BB0_84 Depth=1
	s_andn2_b64 vcc, exec, s[4:5]
	s_cbranch_vccnz .LBB0_543
; %bb.542:                              ;   in Loop: Header=BB0_84 Depth=1
	s_add_u32 s8, s36, 0x1000
	s_addc_u32 s9, s37, 0
	s_mov_b64 s[4:5], s[38:39]
	s_mov_b64 s[10:11], s[34:35]
	s_mov_b32 s12, s45
	s_mov_b32 s13, s44
	;; [unrolled: 1-line block ×3, first 2 shown]
	v_mov_b32_e32 v31, v40
	s_getpc_b64 s[6:7]
	s_add_u32 s6, s6, _Z45ncclDevFunc_Reduce_RING_SIMPLE_Sum_bf16_0_0_1v@rel32@lo+4
	s_addc_u32 s7, s7, _Z45ncclDevFunc_Reduce_RING_SIMPLE_Sum_bf16_0_0_1v@rel32@hi+12
	s_swappc_b64 s[30:31], s[6:7]
.LBB0_543:                              ;   in Loop: Header=BB0_84 Depth=1
	s_mov_b64 s[4:5], 0
.LBB0_544:                              ;   in Loop: Header=BB0_84 Depth=1
	s_andn2_b64 vcc, exec, s[4:5]
	s_cbranch_vccnz .LBB0_546
; %bb.545:                              ;   in Loop: Header=BB0_84 Depth=1
	s_add_u32 s8, s36, 0x1000
	s_addc_u32 s9, s37, 0
	s_mov_b64 s[4:5], s[38:39]
	s_mov_b64 s[10:11], s[34:35]
	s_mov_b32 s12, s45
	s_mov_b32 s13, s44
	;; [unrolled: 1-line block ×3, first 2 shown]
	v_mov_b32_e32 v31, v40
	s_getpc_b64 s[6:7]
	s_add_u32 s6, s6, _Z44ncclDevFunc_Reduce_RING_SIMPLE_Sum_f64_0_0_1v@rel32@lo+4
	s_addc_u32 s7, s7, _Z44ncclDevFunc_Reduce_RING_SIMPLE_Sum_f64_0_0_1v@rel32@hi+12
	s_swappc_b64 s[30:31], s[6:7]
.LBB0_546:                              ;   in Loop: Header=BB0_84 Depth=1
	s_mov_b64 s[4:5], 0
.LBB0_547:                              ;   in Loop: Header=BB0_84 Depth=1
	s_and_b64 vcc, exec, s[4:5]
	s_cbranch_vccz .LBB0_556
; %bb.548:                              ;   in Loop: Header=BB0_84 Depth=1
	v_cmp_lt_i16_e64 s[6:7], s53, 6
	s_mov_b64 s[4:5], -1
	s_and_b64 vcc, exec, s[6:7]
	s_cbranch_vccnz .LBB0_554
; %bb.549:                              ;   in Loop: Header=BB0_84 Depth=1
	v_cmp_ne_u16_e64 s[6:7], s53, 6
	s_and_b64 vcc, exec, s[6:7]
	s_cbranch_vccz .LBB0_551
; %bb.550:                              ;   in Loop: Header=BB0_84 Depth=1
	s_add_u32 s8, s36, 0x1000
	s_addc_u32 s9, s37, 0
	s_mov_b64 s[4:5], s[38:39]
	s_mov_b64 s[10:11], s[34:35]
	s_mov_b32 s12, s45
	s_mov_b32 s13, s44
	;; [unrolled: 1-line block ×3, first 2 shown]
	v_mov_b32_e32 v31, v40
	s_getpc_b64 s[6:7]
	s_add_u32 s6, s6, _Z44ncclDevFunc_Reduce_RING_SIMPLE_Sum_f32_0_0_1v@rel32@lo+4
	s_addc_u32 s7, s7, _Z44ncclDevFunc_Reduce_RING_SIMPLE_Sum_f32_0_0_1v@rel32@hi+12
	s_swappc_b64 s[30:31], s[6:7]
	s_mov_b64 s[4:5], 0
.LBB0_551:                              ;   in Loop: Header=BB0_84 Depth=1
	s_andn2_b64 vcc, exec, s[4:5]
	s_cbranch_vccnz .LBB0_553
; %bb.552:                              ;   in Loop: Header=BB0_84 Depth=1
	s_add_u32 s8, s36, 0x1000
	s_addc_u32 s9, s37, 0
	s_mov_b64 s[4:5], s[38:39]
	s_mov_b64 s[10:11], s[34:35]
	s_mov_b32 s12, s45
	s_mov_b32 s13, s44
	;; [unrolled: 1-line block ×3, first 2 shown]
	v_mov_b32_e32 v31, v40
	s_getpc_b64 s[6:7]
	s_add_u32 s6, s6, _Z44ncclDevFunc_Reduce_RING_SIMPLE_Sum_f16_0_0_1v@rel32@lo+4
	s_addc_u32 s7, s7, _Z44ncclDevFunc_Reduce_RING_SIMPLE_Sum_f16_0_0_1v@rel32@hi+12
	s_swappc_b64 s[30:31], s[6:7]
.LBB0_553:                              ;   in Loop: Header=BB0_84 Depth=1
	s_mov_b64 s[4:5], 0
.LBB0_554:                              ;   in Loop: Header=BB0_84 Depth=1
	s_andn2_b64 vcc, exec, s[4:5]
	s_cbranch_vccnz .LBB0_556
; %bb.555:                              ;   in Loop: Header=BB0_84 Depth=1
	s_add_u32 s8, s36, 0x1000
	s_addc_u32 s9, s37, 0
	s_mov_b64 s[4:5], s[38:39]
	s_mov_b64 s[10:11], s[34:35]
	s_mov_b32 s12, s45
	s_mov_b32 s13, s44
	;; [unrolled: 1-line block ×3, first 2 shown]
	v_mov_b32_e32 v31, v40
	s_getpc_b64 s[6:7]
	s_add_u32 s6, s6, _Z44ncclDevFunc_Reduce_RING_SIMPLE_Sum_u64_0_0_1v@rel32@lo+4
	s_addc_u32 s7, s7, _Z44ncclDevFunc_Reduce_RING_SIMPLE_Sum_u64_0_0_1v@rel32@hi+12
	s_swappc_b64 s[30:31], s[6:7]
.LBB0_556:                              ;   in Loop: Header=BB0_84 Depth=1
	s_mov_b64 s[4:5], 0
.LBB0_557:                              ;   in Loop: Header=BB0_84 Depth=1
	s_andn2_b64 vcc, exec, s[4:5]
	s_cbranch_vccnz .LBB0_570
; %bb.558:                              ;   in Loop: Header=BB0_84 Depth=1
	s_cmp_gt_u32 s53, 1
	s_mov_b64 s[4:5], -1
	s_cbranch_scc0 .LBB0_568
; %bb.559:                              ;   in Loop: Header=BB0_84 Depth=1
	v_cmp_lt_i16_e64 s[6:7], s53, 3
	s_and_b64 vcc, exec, s[6:7]
	s_cbranch_vccnz .LBB0_565
; %bb.560:                              ;   in Loop: Header=BB0_84 Depth=1
	v_cmp_ne_u16_e64 s[6:7], s53, 3
	s_and_b64 vcc, exec, s[6:7]
	s_cbranch_vccz .LBB0_562
; %bb.561:                              ;   in Loop: Header=BB0_84 Depth=1
	s_add_u32 s8, s36, 0x1000
	s_addc_u32 s9, s37, 0
	s_mov_b64 s[4:5], s[38:39]
	s_mov_b64 s[10:11], s[34:35]
	s_mov_b32 s12, s45
	s_mov_b32 s13, s44
	;; [unrolled: 1-line block ×3, first 2 shown]
	v_mov_b32_e32 v31, v40
	s_getpc_b64 s[6:7]
	s_add_u32 s6, s6, _Z44ncclDevFunc_Reduce_RING_SIMPLE_Sum_u32_0_0_1v@rel32@lo+4
	s_addc_u32 s7, s7, _Z44ncclDevFunc_Reduce_RING_SIMPLE_Sum_u32_0_0_1v@rel32@hi+12
	s_swappc_b64 s[30:31], s[6:7]
	s_mov_b64 s[4:5], 0
.LBB0_562:                              ;   in Loop: Header=BB0_84 Depth=1
	s_andn2_b64 vcc, exec, s[4:5]
	s_cbranch_vccnz .LBB0_564
; %bb.563:                              ;   in Loop: Header=BB0_84 Depth=1
	s_add_u32 s8, s36, 0x1000
	s_addc_u32 s9, s37, 0
	s_mov_b64 s[4:5], s[38:39]
	s_mov_b64 s[10:11], s[34:35]
	s_mov_b32 s12, s45
	s_mov_b32 s13, s44
	;; [unrolled: 1-line block ×3, first 2 shown]
	v_mov_b32_e32 v31, v40
	s_getpc_b64 s[6:7]
	s_add_u32 s6, s6, _Z43ncclDevFunc_Reduce_RING_SIMPLE_Sum_u8_0_0_1v@rel32@lo+4
	s_addc_u32 s7, s7, _Z43ncclDevFunc_Reduce_RING_SIMPLE_Sum_u8_0_0_1v@rel32@hi+12
	s_swappc_b64 s[30:31], s[6:7]
.LBB0_564:                              ;   in Loop: Header=BB0_84 Depth=1
	s_mov_b64 s[4:5], 0
.LBB0_565:                              ;   in Loop: Header=BB0_84 Depth=1
	s_andn2_b64 vcc, exec, s[4:5]
	s_cbranch_vccnz .LBB0_567
; %bb.566:                              ;   in Loop: Header=BB0_84 Depth=1
	s_add_u32 s8, s36, 0x1000
	s_addc_u32 s9, s37, 0
	s_mov_b64 s[4:5], s[38:39]
	s_mov_b64 s[10:11], s[34:35]
	s_mov_b32 s12, s45
	s_mov_b32 s13, s44
	;; [unrolled: 1-line block ×3, first 2 shown]
	v_mov_b32_e32 v31, v40
	s_getpc_b64 s[6:7]
	s_add_u32 s6, s6, _Z46ncclDevFunc_Broadcast_RING_SIMPLE_Sum_i8_0_0_1v@rel32@lo+4
	s_addc_u32 s7, s7, _Z46ncclDevFunc_Broadcast_RING_SIMPLE_Sum_i8_0_0_1v@rel32@hi+12
	s_swappc_b64 s[30:31], s[6:7]
.LBB0_567:                              ;   in Loop: Header=BB0_84 Depth=1
	s_mov_b64 s[4:5], 0
.LBB0_568:                              ;   in Loop: Header=BB0_84 Depth=1
	s_and_b64 vcc, exec, s[4:5]
	s_cbranch_vccz .LBB0_570
; %bb.569:                              ;   in Loop: Header=BB0_84 Depth=1
	s_add_u32 s8, s36, 0x1000
	s_addc_u32 s9, s37, 0
	s_mov_b64 s[4:5], s[38:39]
	s_mov_b64 s[10:11], s[34:35]
	s_mov_b32 s12, s45
	s_mov_b32 s13, s44
	;; [unrolled: 1-line block ×3, first 2 shown]
	v_mov_b32_e32 v31, v40
	s_getpc_b64 s[6:7]
	s_add_u32 s6, s6, _Z42ncclDevFunc_Broadcast_RING_LL_Sum_i8_0_0_1v@rel32@lo+4
	s_addc_u32 s7, s7, _Z42ncclDevFunc_Broadcast_RING_LL_Sum_i8_0_0_1v@rel32@hi+12
	s_swappc_b64 s[30:31], s[6:7]
.LBB0_570:                              ;   in Loop: Header=BB0_84 Depth=1
	ds_read_b32 v0, v42 offset:16996
	s_waitcnt lgkmcnt(0)
	v_cmp_eq_u32_e32 vcc, -1, v0
	v_readfirstlane_b32 s12, v0
	s_cbranch_vccnz .LBB0_585
; %bb.571:                              ;   in Loop: Header=BB0_84 Depth=1
	s_barrier
	s_and_saveexec_b64 s[4:5], s[46:47]
	s_cbranch_execz .LBB0_575
; %bb.572:                              ;   in Loop: Header=BB0_84 Depth=1
	s_and_saveexec_b64 s[6:7], s[42:43]
	s_cbranch_execz .LBB0_574
; %bb.573:                              ;   in Loop: Header=BB0_84 Depth=1
	v_mov_b32_e32 v43, v42
	ds_write_b64 v42, v[42:43] offset:19736
.LBB0_574:                              ;   in Loop: Header=BB0_84 Depth=1
	s_or_b64 exec, exec, s[6:7]
	v_mov_b32_e32 v43, v42
	ds_write_b64 v41, v[42:43]
.LBB0_575:                              ;   in Loop: Header=BB0_84 Depth=1
	s_or_b64 exec, exec, s[4:5]
	s_and_saveexec_b64 s[4:5], s[40:41]
	s_cbranch_execz .LBB0_587
; %bb.576:                              ;   in Loop: Header=BB0_84 Depth=1
	ds_read_b64 v[2:3], v42 offset:16976
	ds_read_b32 v6, v42 offset:17004
	s_waitcnt lgkmcnt(0)
	v_add_co_u32_e32 v0, vcc, 1, v2
	v_addc_co_u32_e32 v1, vcc, 0, v3, vcc
	v_ashrrev_i32_e32 v5, 31, v6
	v_add_co_u32_e32 v4, vcc, v2, v6
	v_addc_co_u32_e32 v5, vcc, v3, v5, vcc
	v_cmp_gt_u64_e32 vcc, v[0:1], v[4:5]
	s_cbranch_vccnz .LBB0_586
; %bb.577:                              ;   in Loop: Header=BB0_84 Depth=1
	ds_read_u8 v7, v42 offset:17000
	s_movk_i32 s8, 0x494e
	s_movk_i32 s9, 0x491a
	s_branch .LBB0_579
.LBB0_578:                              ;   in Loop: Header=BB0_579 Depth=2
	v_add_co_u32_e32 v0, vcc, 1, v0
	v_addc_co_u32_e32 v1, vcc, 0, v1, vcc
	s_waitcnt lgkmcnt(0)
	v_ashrrev_i32_e32 v5, 31, v6
	v_add_co_u32_e32 v4, vcc, v2, v6
	v_addc_co_u32_e32 v5, vcc, v3, v5, vcc
	v_cmp_le_u64_e32 vcc, v[0:1], v[4:5]
	s_add_i32 s8, s8, 64
	s_addk_i32 s9, 0x80
	s_cbranch_vccz .LBB0_586
.LBB0_579:                              ;   Parent Loop BB0_84 Depth=1
                                        ; =>  This Inner Loop Header: Depth=2
	s_waitcnt lgkmcnt(0)
	v_cmp_ne_u16_sdwa s[6:7], v7, v42 src0_sel:BYTE_0 src1_sel:DWORD
	s_and_b64 vcc, exec, s[6:7]
	s_cbranch_vccz .LBB0_584
; %bb.580:                              ;   in Loop: Header=BB0_579 Depth=2
	v_mov_b32_e32 v4, s9
	ds_read_u8 v4, v4
	s_waitcnt lgkmcnt(0)
	v_and_b32_e32 v4, 1, v4
	s_cbranch_execnz .LBB0_582
.LBB0_581:                              ;   in Loop: Header=BB0_579 Depth=2
	v_mov_b32_e32 v4, s8
	ds_read_u16 v4, v4
	s_waitcnt lgkmcnt(0)
	v_bfe_u32 v4, v4, 6, 1
.LBB0_582:                              ;   in Loop: Header=BB0_579 Depth=2
	v_cmp_eq_u32_e32 vcc, 0, v4
	s_cbranch_vccnz .LBB0_578
; %bb.583:                              ;   in Loop: Header=BB0_579 Depth=2
	s_memrealtime s[6:7]
	ds_read_u8 v7, v42 offset:17000
	ds_read_b32 v2, v42 offset:16496
	ds_read_b64 v[4:5], v42 offset:16600
	s_waitcnt lgkmcnt(0)
	v_ashrrev_i32_e32 v3, 31, v2
	v_lshlrev_b64 v[2:3], 10, v[2:3]
	v_add_co_u32_e32 v2, vcc, v4, v2
	v_and_b32_e32 v4, 63, v0
	v_addc_co_u32_e32 v3, vcc, v5, v3, vcc
	v_lshlrev_b32_e32 v4, 4, v4
	v_add_co_u32_e32 v4, vcc, v2, v4
	v_addc_co_u32_e32 v5, vcc, 0, v3, vcc
	v_mov_b32_e32 v2, s6
	v_mov_b32_e32 v3, s7
	flat_store_dwordx4 v[4:5], v[0:3]
	ds_read_b64 v[2:3], v42 offset:16976
	ds_read_b32 v6, v42 offset:17004
	s_branch .LBB0_578
.LBB0_584:                              ;   in Loop: Header=BB0_579 Depth=2
                                        ; implicit-def: $vgpr4
	s_branch .LBB0_581
.LBB0_585:                              ;   in Loop: Header=BB0_84 Depth=1
	s_cbranch_execz .LBB0_84
	s_branch .LBB0_70
.LBB0_586:                              ;   in Loop: Header=BB0_84 Depth=1
	ds_write_b64 v42, v[4:5] offset:16976
.LBB0_587:                              ;   in Loop: Header=BB0_84 Depth=1
	s_or_b64 exec, exec, s[4:5]
	s_mov_b32 s14, 0
	v_mov_b32_e32 v9, v46
                                        ; implicit-def: $vgpr0_vgpr1_vgpr2_vgpr3
	s_branch .LBB0_590
.LBB0_588:                              ;   in Loop: Header=BB0_590 Depth=2
	s_or_b64 exec, exec, s[10:11]
	s_mov_b32 s9, s12
	v_mov_b32_e32 v4, v9
.LBB0_589:                              ;   in Loop: Header=BB0_590 Depth=2
	s_andn2_b64 vcc, exec, s[6:7]
	s_mov_b32 s12, s9
	v_mov_b32_e32 v9, v4
	s_cbranch_vccz .LBB0_83
.LBB0_590:                              ;   Parent Loop BB0_84 Depth=1
                                        ; =>  This Inner Loop Header: Depth=2
	s_ashr_i32 s13, s12, 31
	s_lshl_b64 s[4:5], s[12:13], 4
	s_add_u32 s4, s49, s4
	s_addc_u32 s5, s50, s5
	s_load_dwordx4 s[8:11], s[4:5], 0x0
	s_waitcnt lgkmcnt(0)
	v_and_b32_e32 v5, s11, v45
	v_and_b32_e32 v4, s10, v44
	v_cmp_ne_u64_e32 vcc, 0, v[4:5]
	s_and_saveexec_b64 s[4:5], vcc
	s_cbranch_execz .LBB0_592
; %bb.591:                              ;   in Loop: Header=BB0_590 Depth=2
	v_and_b32_e32 v5, s10, v56
	v_and_b32_e32 v4, s11, v57
	v_bcnt_u32_b32 v5, v5, 0
	v_bcnt_u32_b32 v4, v4, v5
	v_add_u32_e32 v4, v47, v4
	ds_write_b8 v4, v46
.LBB0_592:                              ;   in Loop: Header=BB0_590 Depth=2
	s_or_b64 exec, exec, s[4:5]
	s_bcnt1_i32_b64 s15, s[10:11]
	s_bfe_u32 s13, s8, 0x2000f
	s_cmp_lt_i32 s13, 1
	s_cbranch_scc1 .LBB0_595
; %bb.593:                              ;   in Loop: Header=BB0_590 Depth=2
	s_cmp_lg_u32 s13, 1
	s_cbranch_scc0 .LBB0_596
; %bb.594:                              ;   in Loop: Header=BB0_590 Depth=2
	s_mov_b32 s17, 20
	v_mul_u32_u24_e64 v4, s15, 20
	s_movk_i32 s16, 0x140
	s_cbranch_execz .LBB0_597
	s_branch .LBB0_598
.LBB0_595:                              ;   in Loop: Header=BB0_590 Depth=2
                                        ; implicit-def: $vgpr4
                                        ; implicit-def: $sgpr16
                                        ; implicit-def: $sgpr17
	s_branch .LBB0_599
.LBB0_596:                              ;   in Loop: Header=BB0_590 Depth=2
                                        ; implicit-def: $vgpr4
                                        ; implicit-def: $sgpr16
                                        ; implicit-def: $sgpr17
.LBB0_597:                              ;   in Loop: Header=BB0_590 Depth=2
	s_lshl_b32 s4, s15, 3
	s_mov_b32 s17, 8
	s_movk_i32 s16, 0x80
	v_mov_b32_e32 v4, s4
.LBB0_598:                              ;   in Loop: Header=BB0_590 Depth=2
	s_cbranch_execnz .LBB0_600
.LBB0_599:                              ;   in Loop: Header=BB0_590 Depth=2
	s_lshl_b32 s4, s15, 2
	s_mov_b32 s16, 64
	s_mov_b32 s17, 4
	v_mov_b32_e32 v4, s4
.LBB0_600:                              ;   in Loop: Header=BB0_590 Depth=2
	v_cmp_eq_u32_e64 s[4:5], 0, v9
	s_and_saveexec_b64 s[6:7], s[4:5]
	s_cbranch_execz .LBB0_602
; %bb.601:                              ;   in Loop: Header=BB0_590 Depth=2
	v_mov_b32_e32 v5, s16
	ds_write_b32 v42, v5 offset:17008
	s_or_b64 exec, exec, s[6:7]
	v_cmp_lt_i32_e32 vcc, v9, v4
	s_and_saveexec_b64 s[10:11], vcc
	s_cbranch_execz .LBB0_610
	s_branch .LBB0_603
.LBB0_602:                              ;   in Loop: Header=BB0_590 Depth=2
	s_or_b64 exec, exec, s[6:7]
	v_cmp_lt_i32_e32 vcc, v9, v4
	s_and_saveexec_b64 s[10:11], vcc
	s_cbranch_execz .LBB0_610
.LBB0_603:                              ;   in Loop: Header=BB0_590 Depth=2
	v_cvt_f32_u32_e32 v4, s17
	s_sub_i32 s6, 0, s17
	v_sub_u32_e32 v6, 0, v9
	v_max_i32_e32 v6, v9, v6
	v_rcp_iflag_f32_e32 v4, v4
	v_ashrrev_i32_e32 v5, 31, v9
	v_mul_f32_e32 v4, 0x4f7ffffe, v4
	v_cvt_u32_f32_e32 v4, v4
	v_mul_lo_u32 v7, s6, v4
	v_mul_hi_u32 v7, v4, v7
	v_add_u32_e32 v4, v4, v7
	v_mul_hi_u32 v4, v6, v4
	v_mul_lo_u32 v7, v4, s17
	v_sub_u32_e32 v6, v6, v7
	v_add_u32_e32 v8, 1, v4
	v_cmp_le_u32_e32 vcc, s17, v6
	v_subrev_u32_e32 v7, s17, v6
	v_cndmask_b32_e32 v4, v4, v8, vcc
	v_cndmask_b32_e32 v6, v6, v7, vcc
	v_add_u32_e32 v7, 1, v4
	v_cmp_le_u32_e32 vcc, s17, v6
	v_cndmask_b32_e32 v4, v4, v7, vcc
	v_xor_b32_e32 v4, v4, v5
	v_sub_u32_e32 v10, v4, v5
	ds_read_u8 v6, v42 offset:16472
	v_add_u32_e32 v4, v47, v10
	ds_read_u8 v4, v4
	v_mul_lo_u32 v5, v10, s17
	v_sub_u32_e32 v5, v9, v5
	s_waitcnt lgkmcnt(0)
	v_cmp_ne_u16_e64 s[6:7], 0, v6
	s_and_b64 vcc, exec, s[6:7]
	v_lshlrev_b32_e32 v11, 4, v5
	s_cbranch_vccz .LBB0_606
; %bb.604:                              ;   in Loop: Header=BB0_590 Depth=2
	s_and_b64 vcc, exec, s[6:7]
	s_cbranch_vccz .LBB0_607
.LBB0_605:                              ;   in Loop: Header=BB0_590 Depth=2
	ds_read_b32 v12, v42 offset:16476
	ds_read_b64 v[6:7], v42 offset:16480
	v_mul_u32_u24_e32 v4, s16, v4
	v_lshlrev_b32_e32 v8, 4, v5
	v_add3_u32 v4, v8, s9, v4
	s_waitcnt lgkmcnt(0)
	v_and_b32_e32 v4, v12, v4
	v_add_co_u32_e32 v4, vcc, v6, v4
	v_addc_co_u32_e32 v5, vcc, 0, v7, vcc
	flat_load_dwordx4 v[4:7], v[4:5]
	s_cbranch_execz .LBB0_608
	s_branch .LBB0_609
.LBB0_606:                              ;   in Loop: Header=BB0_590 Depth=2
	v_lshlrev_b32_e32 v0, 4, v5
	v_mul_u32_u24_e32 v1, s16, v4
	v_add3_u32 v0, v0, s9, v1
	global_load_dwordx4 v[0:3], v0, s[36:37]
	s_and_b64 vcc, exec, s[6:7]
	s_cbranch_vccnz .LBB0_605
.LBB0_607:                              ;   in Loop: Header=BB0_590 Depth=2
                                        ; implicit-def: $vgpr4_vgpr5_vgpr6_vgpr7
                                        ; implicit-def: $vgpr8
.LBB0_608:                              ;   in Loop: Header=BB0_590 Depth=2
	s_waitcnt vmcnt(0) lgkmcnt(0)
	v_pk_mov_b32 v[6:7], v[2:3], v[2:3] op_sel:[0,1]
	v_mov_b32_e32 v8, v11
	v_pk_mov_b32 v[4:5], v[0:1], v[0:1] op_sel:[0,1]
.LBB0_609:                              ;   in Loop: Header=BB0_590 Depth=2
	s_waitcnt vmcnt(0)
	v_add_u32_e32 v0, s14, v10
	v_mad_u64_u32 v[0:1], s[6:7], v0, s16, v[8:9]
	s_waitcnt lgkmcnt(0)
	ds_write_b128 v0, v[4:7] offset:18704
	v_pk_mov_b32 v[0:1], v[4:5], v[4:5] op_sel:[0,1]
	v_pk_mov_b32 v[2:3], v[6:7], v[6:7] op_sel:[0,1]
.LBB0_610:                              ;   in Loop: Header=BB0_590 Depth=2
	s_or_b64 exec, exec, s[10:11]
	s_bitcmp0_b32 s8, 14
	s_cselect_b64 s[6:7], -1, 0
	s_and_b64 vcc, exec, s[6:7]
	s_cbranch_vccnz .LBB0_612
; %bb.611:                              ;   in Loop: Header=BB0_590 Depth=2
	v_mov_b32_e32 v4, s48
	v_cmp_gt_i32_e32 vcc, 64, v9
	s_and_b32 s9, s8, 0x3fff
	v_cndmask_b32_e32 v4, 0, v4, vcc
	s_add_i32 s9, s9, s12
	v_add3_u32 v4, v9, v4, s52
	s_add_i32 s14, s14, s15
	s_cbranch_execnz .LBB0_589
	s_branch .LBB0_613
.LBB0_612:                              ;   in Loop: Header=BB0_590 Depth=2
                                        ; implicit-def: $vgpr4
                                        ; implicit-def: $sgpr9
	s_add_i32 s14, s14, s15
.LBB0_613:                              ;   in Loop: Header=BB0_590 Depth=2
	s_and_saveexec_b64 s[10:11], s[4:5]
	s_cbranch_execz .LBB0_588
; %bb.614:                              ;   in Loop: Header=BB0_590 Depth=2
	s_and_b32 s4, s8, 0x3fff
	s_add_i32 s5, s4, s12
	s_cmp_lg_u32 s4, 0
	s_cselect_b32 s4, s5, -1
	v_mov_b32_e32 v4, s12
	v_mov_b32_e32 v5, s4
	ds_write_b64 v42, v[4:5] offset:16992
	v_mov_b32_e32 v4, s13
	ds_write_b8 v42, v4 offset:17000
	v_mov_b32_e32 v4, s14
	s_lshr_b32 s4, s8, 17
	ds_write_b32 v42, v4 offset:17004
	v_mov_b32_e32 v4, s4
	v_mov_b32_e32 v9, 0
	ds_write_b16 v42, v4 offset:17002
	s_branch .LBB0_588
	.section	.rodata,"a",@progbits
	.p2align	6, 0x0
	.amdhsa_kernel _Z23ncclDevKernel_Generic_124ncclDevKernelArgsStorageILm4096EE
		.amdhsa_group_segment_fixed_size 19744
		.amdhsa_private_segment_fixed_size 0
		.amdhsa_kernarg_size 4352
		.amdhsa_user_sgpr_count 12
		.amdhsa_user_sgpr_private_segment_buffer 1
		.amdhsa_user_sgpr_dispatch_ptr 1
		.amdhsa_user_sgpr_queue_ptr 0
		.amdhsa_user_sgpr_kernarg_segment_ptr 1
		.amdhsa_user_sgpr_dispatch_id 1
		.amdhsa_user_sgpr_flat_scratch_init 1
		.amdhsa_user_sgpr_kernarg_preload_length 0
		.amdhsa_user_sgpr_kernarg_preload_offset 0
		.amdhsa_user_sgpr_private_segment_size 0
		.amdhsa_uses_dynamic_stack 1
		.amdhsa_system_sgpr_private_segment_wavefront_offset 1
		.amdhsa_system_sgpr_workgroup_id_x 1
		.amdhsa_system_sgpr_workgroup_id_y 1
		.amdhsa_system_sgpr_workgroup_id_z 1
		.amdhsa_system_sgpr_workgroup_info 0
		.amdhsa_system_vgpr_workitem_id 2
		.amdhsa_next_free_vgpr 73
		.amdhsa_next_free_sgpr 54
		.amdhsa_accum_offset 76
		.amdhsa_reserve_vcc 1
		.amdhsa_reserve_flat_scratch 1
		.amdhsa_float_round_mode_32 0
		.amdhsa_float_round_mode_16_64 0
		.amdhsa_float_denorm_mode_32 3
		.amdhsa_float_denorm_mode_16_64 3
		.amdhsa_dx10_clamp 1
		.amdhsa_ieee_mode 1
		.amdhsa_fp16_overflow 0
		.amdhsa_tg_split 0
		.amdhsa_exception_fp_ieee_invalid_op 0
		.amdhsa_exception_fp_denorm_src 0
		.amdhsa_exception_fp_ieee_div_zero 0
		.amdhsa_exception_fp_ieee_overflow 0
		.amdhsa_exception_fp_ieee_underflow 0
		.amdhsa_exception_fp_ieee_inexact 0
		.amdhsa_exception_int_div_zero 0
	.end_amdhsa_kernel
	.text
.Lfunc_end0:
	.size	_Z23ncclDevKernel_Generic_124ncclDevKernelArgsStorageILm4096EE, .Lfunc_end0-_Z23ncclDevKernel_Generic_124ncclDevKernelArgsStorageILm4096EE
                                        ; -- End function
	.section	.AMDGPU.csdata,"",@progbits
; Kernel info:
; codeLenInByte = 15172
; NumSgprs: 60
; NumVgprs: 73
; NumAgprs: 0
; TotalNumVgprs: 73
; ScratchSize: 0
; MemoryBound: 1
; FloatMode: 240
; IeeeMode: 1
; LDSByteSize: 19744 bytes/workgroup (compile time only)
; SGPRBlocks: 7
; VGPRBlocks: 9
; NumSGPRsForWavesPerEU: 60
; NumVGPRsForWavesPerEU: 73
; AccumOffset: 76
; Occupancy: 3
; WaveLimiterHint : 0
; COMPUTE_PGM_RSRC2:SCRATCH_EN: 1
; COMPUTE_PGM_RSRC2:USER_SGPR: 12
; COMPUTE_PGM_RSRC2:TRAP_HANDLER: 0
; COMPUTE_PGM_RSRC2:TGID_X_EN: 1
; COMPUTE_PGM_RSRC2:TGID_Y_EN: 1
; COMPUTE_PGM_RSRC2:TGID_Z_EN: 1
; COMPUTE_PGM_RSRC2:TIDIG_COMP_CNT: 2
; COMPUTE_PGM_RSRC3_GFX90A:ACCUM_OFFSET: 18
; COMPUTE_PGM_RSRC3_GFX90A:TG_SPLIT: 0
	.text
	.protected	_Z23ncclDevKernel_Generic_224ncclDevKernelArgsStorageILm4096EE ; -- Begin function _Z23ncclDevKernel_Generic_224ncclDevKernelArgsStorageILm4096EE
	.globl	_Z23ncclDevKernel_Generic_224ncclDevKernelArgsStorageILm4096EE
	.p2align	8
	.type	_Z23ncclDevKernel_Generic_224ncclDevKernelArgsStorageILm4096EE,@function
_Z23ncclDevKernel_Generic_224ncclDevKernelArgsStorageILm4096EE: ; @_Z23ncclDevKernel_Generic_224ncclDevKernelArgsStorageILm4096EE
; %bb.0:
	s_add_u32 flat_scratch_lo, s10, s15
	s_addc_u32 flat_scratch_hi, s11, 0
	v_mov_b32_e32 v40, v0
	s_add_u32 s0, s0, s15
	v_and_b32_e32 v11, 0x3ff, v40
	s_addc_u32 s1, s1, 0
	s_mov_b32 s33, s14
	s_mov_b32 s44, s13
	;; [unrolled: 1-line block ×3, first 2 shown]
	s_mov_b64 s[34:35], s[8:9]
	s_mov_b64 s[36:37], s[6:7]
	;; [unrolled: 1-line block ×3, first 2 shown]
	v_cmp_gt_u32_e32 vcc, 12, v11
	s_mov_b32 s32, 0
	s_and_saveexec_b64 s[4:5], vcc
	s_cbranch_execz .LBB1_2
; %bb.1:
	v_lshlrev_b32_e32 v0, 2, v11
	global_load_dword v1, v0, s[36:37]
	s_waitcnt vmcnt(0)
	ds_write_b32 v0, v1 offset:16448
.LBB1_2:
	s_or_b64 exec, exec, s[4:5]
	s_load_dword s18, s[36:37], 0x100c
	v_lshrrev_b32_e32 v12, 6, v11
	v_cmp_lt_i32_e32 vcc, 0, v12
	s_and_saveexec_b64 s[4:5], vcc
	s_xor_b64 s[4:5], exec, s[4:5]
	s_cbranch_execz .LBB1_16
; %bb.3:
	v_cmp_lt_i32_e32 vcc, 2, v12
	s_and_saveexec_b64 s[6:7], vcc
	s_xor_b64 s[6:7], exec, s[6:7]
	s_cbranch_execz .LBB1_8
; %bb.4:
	v_cmp_eq_u32_e32 vcc, 3, v12
	s_and_saveexec_b64 s[8:9], vcc
	s_cbranch_execz .LBB1_7
; %bb.5:
	s_movk_i32 s10, 0xc0
	v_cmp_eq_u32_e32 vcc, s10, v11
	s_and_b64 exec, exec, vcc
	s_cbranch_execz .LBB1_7
; %bb.6:
	v_mov_b32_e32 v0, 0
	ds_write_b32 v0, v0 offset:16500
.LBB1_7:
	s_or_b64 exec, exec, s[8:9]
.LBB1_8:
	s_andn2_saveexec_b64 s[6:7], s[6:7]
	s_cbranch_execz .LBB1_15
; %bb.9:
	v_cmp_eq_u32_e32 vcc, 1, v12
	s_and_saveexec_b64 s[8:9], vcc
	s_cbranch_execz .LBB1_14
; %bb.10:
	s_movk_i32 s10, 0x44
	v_cmp_gt_u32_e32 vcc, s10, v11
	s_and_b64 exec, exec, vcc
	s_cbranch_execz .LBB1_14
; %bb.11:
	v_cmp_eq_u32_e32 vcc, 64, v11
	s_and_saveexec_b64 s[10:11], vcc
	s_cbranch_execz .LBB1_13
; %bb.12:
	v_mov_b32_e32 v0, 0
	v_mov_b32_e32 v1, v0
	ds_write_b64 v0, v[0:1] offset:19736
.LBB1_13:
	s_or_b64 exec, exec, s[10:11]
	s_movk_i32 s10, 0x160
	v_mov_b32_e32 v0, 0xffffeb98
	v_mad_u32_u24 v2, v11, s10, v0
	v_mov_b32_e32 v0, 0
	v_mov_b32_e32 v1, v0
	ds_write_b64 v2, v[0:1]
.LBB1_14:
	s_or_b64 exec, exec, s[8:9]
.LBB1_15:
	s_or_b64 exec, exec, s[6:7]
.LBB1_16:
	s_andn2_saveexec_b64 s[4:5], s[4:5]
	s_cbranch_execz .LBB1_22
; %bb.17:
	s_load_dwordx2 s[8:9], s[36:37], 0x8
	v_lshlrev_b64 v[0:1], v11, 1
	v_add_co_u32_e32 v2, vcc, -1, v0
	v_addc_co_u32_e32 v3, vcc, -1, v1, vcc
	s_waitcnt lgkmcnt(0)
	v_and_b32_e32 v5, s9, v1
	v_and_b32_e32 v4, s8, v0
	s_mov_b64 s[6:7], 0
	v_cmp_eq_u64_e64 s[12:13], 0, v[4:5]
	v_cmp_ne_u64_e32 vcc, 0, v[4:5]
                                        ; implicit-def: $sgpr14
	s_and_saveexec_b64 s[10:11], vcc
	s_cbranch_execz .LBB1_58
; %bb.18:
	v_and_b32_e32 v5, s8, v2
	v_and_b32_e32 v4, s9, v3
	v_bcnt_u32_b32 v5, v5, 0
	v_bcnt_u32_b32 v4, v4, v5
	v_cmp_ne_u32_e32 vcc, s45, v4
	s_andn2_b64 s[12:13], s[12:13], exec
	s_and_b64 s[16:17], vcc, exec
	s_mov_b64 s[6:7], exec
	s_mov_b32 s14, 0
	s_or_b64 s[12:13], s[12:13], s[16:17]
	s_or_b64 exec, exec, s[10:11]
	v_mov_b32_e32 v4, s14
	s_and_saveexec_b64 s[10:11], s[12:13]
	s_cbranch_execnz .LBB1_59
.LBB1_19:
	s_or_b64 exec, exec, s[10:11]
	s_and_saveexec_b64 s[8:9], s[6:7]
	s_cbranch_execz .LBB1_21
.LBB1_20:
	v_add_u32_e32 v0, v4, v11
	v_mov_b32_e32 v1, 0
	ds_write_b32 v1, v0 offset:16496
.LBB1_21:
	s_or_b64 exec, exec, s[8:9]
.LBB1_22:
	s_or_b64 exec, exec, s[4:5]
	v_cmp_eq_u32_e64 s[40:41], 0, v11
	s_waitcnt lgkmcnt(0)
	s_barrier
	s_and_saveexec_b64 s[4:5], s[40:41]
	s_cbranch_execz .LBB1_24
; %bb.23:
	v_mov_b32_e32 v2, 0
	ds_read_b32 v3, v2 offset:16496
	ds_read_b64 v[0:1], v2 offset:16448
	s_movk_i32 s6, 0x180
	s_waitcnt lgkmcnt(1)
	v_mul_hi_i32 v4, v3, s6
	v_mul_lo_u32 v3, v3, s6
	s_waitcnt lgkmcnt(0)
	v_add_co_u32_e32 v0, vcc, v0, v3
	v_addc_co_u32_e32 v1, vcc, v1, v4, vcc
	flat_load_dwordx2 v[0:1], v[0:1] offset:464
	ds_write_b32 v2, v2 offset:16500
	s_waitcnt vmcnt(0) lgkmcnt(0)
	ds_write_b64 v2, v[0:1] offset:16976
.LBB1_24:
	s_or_b64 exec, exec, s[4:5]
	s_and_b32 s48, 0xffff, s18
	v_cmp_lt_i32_e32 vcc, 0, v12
	s_mov_b64 s[4:5], 0
                                        ; implicit-def: $vgpr0_vgpr1
                                        ; implicit-def: $vgpr2
	s_and_saveexec_b64 s[6:7], vcc
	s_xor_b64 s[8:9], exec, s[6:7]
	s_cbranch_execz .LBB1_54
; %bb.25:
	v_cmp_ne_u32_e32 vcc, 1, v12
	s_and_saveexec_b64 s[4:5], vcc
	s_xor_b64 s[10:11], exec, s[4:5]
	s_cbranch_execz .LBB1_62
; %bb.26:
	v_add_u32_e32 v18, 0xffffff80, v11
	v_ashrrev_i16_e32 v0, 15, v18
	v_lshrrev_b16_e32 v0, 10, v0
	v_add_u16_e32 v0, v18, v0
	v_and_b32_e32 v0, 0xffffffc0, v0
	v_sub_u16_e32 v13, v18, v0
	v_bfe_i32 v0, v13, 0, 16
	s_add_i32 s18, s48, 0xffffff80
	v_lshlrev_b64 v[8:9], v0, 1
	v_add_co_u32_e32 v15, vcc, -1, v8
	s_add_u32 s20, s36, 48
	s_movk_i32 s19, 0xffc0
	v_mul_u32_u24_e32 v14, 0x1010, v12
	v_addc_co_u32_e32 v16, vcc, -1, v9, vcc
	s_addc_u32 s21, s37, 0
	s_mov_b32 s22, 0
	v_mov_b32_e32 v17, 0
	s_mov_b32 s12, s45
                                        ; implicit-def: $vgpr0_vgpr1_vgpr2_vgpr3
	s_branch .LBB1_29
.LBB1_27:                               ;   in Loop: Header=BB1_29 Depth=1
	s_or_b64 exec, exec, s[16:17]
	s_mov_b32 s15, s12
	v_mov_b32_e32 v4, v18
.LBB1_28:                               ;   in Loop: Header=BB1_29 Depth=1
	s_and_b64 vcc, exec, s[6:7]
	s_mov_b32 s12, s15
	v_mov_b32_e32 v18, v4
	s_cbranch_vccnz .LBB1_62
.LBB1_29:                               ; =>This Inner Loop Header: Depth=1
	s_ashr_i32 s13, s12, 31
	s_lshl_b64 s[4:5], s[12:13], 4
	s_add_u32 s4, s20, s4
	s_addc_u32 s5, s21, s5
	s_load_dwordx2 s[6:7], s[4:5], 0x8
	s_waitcnt lgkmcnt(0)
	v_and_b32_e32 v5, s7, v9
	v_and_b32_e32 v4, s6, v8
	v_cmp_ne_u64_e32 vcc, 0, v[4:5]
	s_and_saveexec_b64 s[14:15], vcc
	s_cbranch_execz .LBB1_31
; %bb.30:                               ;   in Loop: Header=BB1_29 Depth=1
	v_and_b32_e32 v5, s6, v15
	v_and_b32_e32 v4, s7, v16
	v_bcnt_u32_b32 v5, v5, 0
	v_bcnt_u32_b32 v4, v4, v5
	v_add_u32_e32 v4, v14, v4
	ds_write_b8 v4, v13
.LBB1_31:                               ;   in Loop: Header=BB1_29 Depth=1
	s_or_b64 exec, exec, s[14:15]
	s_load_dwordx2 s[14:15], s[4:5], 0x0
	s_bcnt1_i32_b64 s23, s[6:7]
	s_waitcnt lgkmcnt(0)
	s_bfe_u32 s13, s14, 0x2000f
	s_cmp_lt_i32 s13, 1
	s_cbranch_scc1 .LBB1_34
; %bb.32:                               ;   in Loop: Header=BB1_29 Depth=1
	s_cmp_lg_u32 s13, 1
	s_cbranch_scc0 .LBB1_35
; %bb.33:                               ;   in Loop: Header=BB1_29 Depth=1
	s_mov_b32 s25, 20
	v_mul_u32_u24_e64 v4, s23, 20
	s_movk_i32 s24, 0x140
	s_cbranch_execz .LBB1_36
	s_branch .LBB1_37
.LBB1_34:                               ;   in Loop: Header=BB1_29 Depth=1
                                        ; implicit-def: $vgpr4
                                        ; implicit-def: $sgpr24
                                        ; implicit-def: $sgpr25
	s_branch .LBB1_38
.LBB1_35:                               ;   in Loop: Header=BB1_29 Depth=1
                                        ; implicit-def: $vgpr4
                                        ; implicit-def: $sgpr24
                                        ; implicit-def: $sgpr25
.LBB1_36:                               ;   in Loop: Header=BB1_29 Depth=1
	s_lshl_b32 s4, s23, 3
	s_mov_b32 s25, 8
	s_movk_i32 s24, 0x80
	v_mov_b32_e32 v4, s4
.LBB1_37:                               ;   in Loop: Header=BB1_29 Depth=1
	s_cbranch_execnz .LBB1_39
.LBB1_38:                               ;   in Loop: Header=BB1_29 Depth=1
	s_lshl_b32 s4, s23, 2
	s_mov_b32 s24, 64
	s_mov_b32 s25, 4
	v_mov_b32_e32 v4, s4
.LBB1_39:                               ;   in Loop: Header=BB1_29 Depth=1
	v_cmp_eq_u32_e64 s[4:5], 0, v18
	s_and_saveexec_b64 s[6:7], s[4:5]
	s_cbranch_execz .LBB1_41
; %bb.40:                               ;   in Loop: Header=BB1_29 Depth=1
	v_mov_b32_e32 v5, s24
	ds_write_b32 v17, v5 offset:17008
	s_or_b64 exec, exec, s[6:7]
	v_cmp_lt_i32_e32 vcc, v18, v4
	s_and_saveexec_b64 s[16:17], vcc
	s_cbranch_execz .LBB1_49
	s_branch .LBB1_42
.LBB1_41:                               ;   in Loop: Header=BB1_29 Depth=1
	s_or_b64 exec, exec, s[6:7]
	v_cmp_lt_i32_e32 vcc, v18, v4
	s_and_saveexec_b64 s[16:17], vcc
	s_cbranch_execz .LBB1_49
.LBB1_42:                               ;   in Loop: Header=BB1_29 Depth=1
	v_cvt_f32_u32_e32 v4, s25
	s_sub_i32 s6, 0, s25
	v_sub_u32_e32 v6, 0, v18
	v_max_i32_e32 v6, v18, v6
	v_rcp_iflag_f32_e32 v4, v4
	v_ashrrev_i32_e32 v5, 31, v18
	v_mul_f32_e32 v4, 0x4f7ffffe, v4
	v_cvt_u32_f32_e32 v4, v4
	v_mul_lo_u32 v7, s6, v4
	v_mul_hi_u32 v7, v4, v7
	v_add_u32_e32 v4, v4, v7
	v_mul_hi_u32 v4, v6, v4
	v_mul_lo_u32 v7, v4, s25
	v_sub_u32_e32 v6, v6, v7
	v_add_u32_e32 v10, 1, v4
	v_cmp_le_u32_e32 vcc, s25, v6
	v_subrev_u32_e32 v7, s25, v6
	v_cndmask_b32_e32 v4, v4, v10, vcc
	v_cndmask_b32_e32 v6, v6, v7, vcc
	v_add_u32_e32 v7, 1, v4
	v_cmp_le_u32_e32 vcc, s25, v6
	v_cndmask_b32_e32 v4, v4, v7, vcc
	v_xor_b32_e32 v4, v4, v5
	v_sub_u32_e32 v19, v4, v5
	ds_read_u8 v5, v17 offset:16472
	v_add_u32_e32 v4, v14, v19
	ds_read_u8 v4, v4
	v_mul_lo_u32 v6, v19, s25
	v_sub_u32_e32 v20, v18, v6
	s_waitcnt lgkmcnt(1)
	v_cmp_ne_u16_e64 s[6:7], 0, v5
	s_and_b64 vcc, exec, s[6:7]
	s_cbranch_vccz .LBB1_45
; %bb.43:                               ;   in Loop: Header=BB1_29 Depth=1
	s_and_b64 vcc, exec, s[6:7]
	s_cbranch_vccz .LBB1_46
.LBB1_44:                               ;   in Loop: Header=BB1_29 Depth=1
	ds_read_b32 v5, v17 offset:16476
	ds_read_b64 v[6:7], v17 offset:16480
	s_waitcnt lgkmcnt(2)
	v_mul_u32_u24_e32 v4, s24, v4
	v_lshlrev_b32_e32 v10, 4, v20
	v_add3_u32 v4, v10, s15, v4
	s_waitcnt lgkmcnt(1)
	v_and_b32_e32 v4, v5, v4
	s_waitcnt lgkmcnt(0)
	v_add_co_u32_e32 v4, vcc, v6, v4
	v_addc_co_u32_e32 v5, vcc, 0, v7, vcc
	flat_load_dwordx4 v[4:7], v[4:5]
	s_cbranch_execz .LBB1_47
	s_branch .LBB1_48
.LBB1_45:                               ;   in Loop: Header=BB1_29 Depth=1
	v_lshlrev_b32_e32 v0, 4, v20
	s_waitcnt lgkmcnt(0)
	v_mul_u32_u24_e32 v1, s24, v4
	v_add3_u32 v0, v0, s15, v1
	global_load_dwordx4 v[0:3], v0, s[36:37]
	s_and_b64 vcc, exec, s[6:7]
	s_cbranch_vccnz .LBB1_44
.LBB1_46:                               ;   in Loop: Header=BB1_29 Depth=1
                                        ; implicit-def: $vgpr4_vgpr5_vgpr6_vgpr7
                                        ; implicit-def: $vgpr10
.LBB1_47:                               ;   in Loop: Header=BB1_29 Depth=1
	s_waitcnt vmcnt(0) lgkmcnt(0)
	v_pk_mov_b32 v[6:7], v[2:3], v[2:3] op_sel:[0,1]
	v_lshlrev_b32_e32 v10, 4, v20
	v_pk_mov_b32 v[4:5], v[0:1], v[0:1] op_sel:[0,1]
.LBB1_48:                               ;   in Loop: Header=BB1_29 Depth=1
	s_waitcnt vmcnt(0)
	v_add_u32_e32 v0, s22, v19
	v_mad_u64_u32 v[0:1], s[6:7], v0, s24, v[10:11]
	s_waitcnt lgkmcnt(0)
	ds_write_b128 v0, v[4:7] offset:18704
	v_pk_mov_b32 v[0:1], v[4:5], v[4:5] op_sel:[0,1]
	v_pk_mov_b32 v[2:3], v[6:7], v[6:7] op_sel:[0,1]
.LBB1_49:                               ;   in Loop: Header=BB1_29 Depth=1
	s_or_b64 exec, exec, s[16:17]
	s_bitcmp0_b32 s14, 14
	s_cselect_b64 s[6:7], -1, 0
	s_and_b64 vcc, exec, s[6:7]
	s_cbranch_vccnz .LBB1_51
; %bb.50:                               ;   in Loop: Header=BB1_29 Depth=1
	v_mov_b32_e32 v4, s18
	v_cmp_gt_i32_e32 vcc, 64, v18
	s_and_b32 s15, s14, 0x3fff
	v_cndmask_b32_e32 v4, 0, v4, vcc
	s_add_i32 s15, s15, s12
	v_add3_u32 v4, v18, v4, s19
	s_add_i32 s22, s22, s23
	s_cbranch_execnz .LBB1_28
	s_branch .LBB1_52
.LBB1_51:                               ;   in Loop: Header=BB1_29 Depth=1
                                        ; implicit-def: $vgpr4
                                        ; implicit-def: $sgpr15
	s_add_i32 s22, s22, s23
.LBB1_52:                               ;   in Loop: Header=BB1_29 Depth=1
	s_and_saveexec_b64 s[16:17], s[4:5]
	s_cbranch_execz .LBB1_27
; %bb.53:                               ;   in Loop: Header=BB1_29 Depth=1
	s_and_b32 s4, s14, 0x3fff
	s_add_i32 s5, s4, s12
	s_cmp_lg_u32 s4, 0
	s_cselect_b32 s4, s5, -1
	v_mov_b32_e32 v4, s12
	v_mov_b32_e32 v5, s4
	ds_write_b64 v17, v[4:5] offset:16992
	v_mov_b32_e32 v4, s13
	ds_write_b8 v17, v4 offset:17000
	v_mov_b32_e32 v4, s22
	s_lshr_b32 s4, s14, 17
	ds_write_b32 v17, v4 offset:17004
	v_mov_b32_e32 v4, s4
	v_mov_b32_e32 v18, 0
	ds_write_b16 v17, v4 offset:17002
	s_branch .LBB1_27
.LBB1_54:
	s_andn2_saveexec_b64 s[6:7], s[8:9]
	s_cbranch_execz .LBB1_67
.LBB1_55:
	v_cmp_gt_u32_e32 vcc, 6, v11
	s_mov_b64 s[10:11], s[4:5]
                                        ; implicit-def: $vgpr0_vgpr1
                                        ; implicit-def: $vgpr2
	s_and_saveexec_b64 s[8:9], vcc
	s_cbranch_execz .LBB1_57
; %bb.56:
	v_mov_b32_e32 v0, 0
	ds_read_b64 v[0:1], v0 offset:16448
	v_lshlrev_b32_e32 v2, 4, v11
	s_or_b64 s[10:11], s[4:5], exec
	s_waitcnt lgkmcnt(0)
	v_add_co_u32_e32 v0, vcc, v0, v2
	v_addc_co_u32_e32 v1, vcc, 0, v1, vcc
	v_add_u32_e32 v2, 0x4080, v2
.LBB1_57:
	s_or_b64 exec, exec, s[8:9]
	s_andn2_b64 s[4:5], s[4:5], exec
	s_and_b64 s[8:9], s[10:11], exec
	s_or_b64 s[4:5], s[4:5], s[8:9]
	s_or_b64 exec, exec, s[6:7]
	s_and_saveexec_b64 s[6:7], s[4:5]
	s_cbranch_execnz .LBB1_68
	s_branch .LBB1_69
.LBB1_58:
	s_or_b64 exec, exec, s[10:11]
	v_mov_b32_e32 v4, s14
	s_and_saveexec_b64 s[10:11], s[12:13]
	s_cbranch_execz .LBB1_19
.LBB1_59:
	s_load_dwordx2 s[16:17], s[36:37], 0x10
	s_mov_b64 s[12:13], 0
                                        ; implicit-def: $sgpr19
	s_waitcnt lgkmcnt(0)
	v_and_b32_e32 v1, s17, v1
	v_and_b32_e32 v0, s16, v0
	v_cmp_ne_u64_e32 vcc, 0, v[0:1]
	s_and_saveexec_b64 s[14:15], vcc
	s_xor_b64 s[14:15], exec, s[14:15]
; %bb.60:
	v_and_b32_e32 v1, s16, v2
	v_and_b32_e32 v0, s17, v3
	v_bcnt_u32_b32 v1, v1, 0
	s_bcnt1_i32_b64 s19, s[8:9]
	v_bcnt_u32_b32 v0, v0, v1
	v_add_u32_e32 v0, s19, v0
	v_cmp_eq_u32_e32 vcc, s45, v0
	s_and_b64 s[12:13], vcc, exec
; %bb.61:
	s_or_b64 exec, exec, s[14:15]
	s_andn2_b64 s[6:7], s[6:7], exec
	s_and_b64 s[8:9], s[12:13], exec
	v_mov_b32_e32 v4, s19
	s_or_b64 s[6:7], s[6:7], s[8:9]
	s_or_b64 exec, exec, s[10:11]
	s_and_saveexec_b64 s[8:9], s[6:7]
	s_cbranch_execnz .LBB1_20
	s_branch .LBB1_21
.LBB1_62:
	s_or_saveexec_b64 s[4:5], s[10:11]
	s_mov_b64 s[6:7], 0
                                        ; implicit-def: $vgpr0_vgpr1
                                        ; implicit-def: $vgpr2
	s_xor_b64 exec, exec, s[4:5]
	s_cbranch_execz .LBB1_66
; %bb.63:
	s_movk_i32 s6, 0x58
	v_cmp_gt_u32_e32 vcc, s6, v11
	s_mov_b64 s[6:7], 0
                                        ; implicit-def: $vgpr0_vgpr1
                                        ; implicit-def: $vgpr2
	s_and_saveexec_b64 s[10:11], vcc
	s_xor_b64 s[10:11], exec, s[10:11]
	s_cbranch_execz .LBB1_65
; %bb.64:
	v_mov_b32_e32 v0, 0
	ds_read_b32 v2, v0 offset:16496
	ds_read_b64 v[0:1], v0 offset:16448
	s_movk_i32 s12, 0x180
	s_mov_b64 s[6:7], exec
	s_waitcnt lgkmcnt(1)
	v_mul_hi_i32 v3, v2, s12
	v_mul_lo_u32 v2, v2, s12
	s_waitcnt lgkmcnt(0)
	v_add_co_u32_e32 v0, vcc, v0, v2
	v_addc_co_u32_e32 v1, vcc, v1, v3, vcc
	v_add_co_u32_e32 v0, vcc, 0x60, v0
	v_lshlrev_b32_e32 v2, 4, v11
	v_addc_co_u32_e32 v1, vcc, 0, v1, vcc
	v_add_u32_e32 v3, 0xfffffc00, v2
	v_ashrrev_i32_e32 v4, 31, v3
	v_add_co_u32_e32 v0, vcc, v0, v3
	v_addc_co_u32_e32 v1, vcc, v1, v4, vcc
	v_add_u32_e32 v2, 0x3ce0, v2
.LBB1_65:
	s_or_b64 exec, exec, s[10:11]
	s_and_b64 s[6:7], s[6:7], exec
.LBB1_66:
	s_or_b64 exec, exec, s[4:5]
	s_and_b64 s[4:5], s[6:7], exec
	s_andn2_saveexec_b64 s[6:7], s[8:9]
	s_cbranch_execnz .LBB1_55
.LBB1_67:
	s_or_b64 exec, exec, s[6:7]
	s_and_saveexec_b64 s[6:7], s[4:5]
	s_cbranch_execz .LBB1_69
.LBB1_68:
	flat_load_dwordx2 v[4:5], v[0:1]
	s_waitcnt vmcnt(0) lgkmcnt(0)
	ds_write_b64 v2, v[4:5]
	flat_load_dwordx2 v[0:1], v[0:1] offset:8
	s_waitcnt vmcnt(0) lgkmcnt(0)
	ds_write_b64 v2, v[0:1] offset:8
.LBB1_69:
	s_or_b64 exec, exec, s[6:7]
	v_mov_b32_e32 v42, 0
	s_waitcnt lgkmcnt(0)
	s_barrier
	ds_read_b32 v0, v42 offset:16500
	s_waitcnt lgkmcnt(0)
	v_cmp_ne_u32_e32 vcc, 0, v0
	s_cbranch_vccz .LBB1_82
.LBB1_70:
	s_and_saveexec_b64 s[4:5], s[40:41]
	s_cbranch_execz .LBB1_81
; %bb.71:
	v_mov_b32_e32 v6, 0
	ds_read_b64 v[2:3], v6 offset:16976
	ds_read_b32 v7, v6 offset:17004
	s_waitcnt lgkmcnt(0)
	v_add_co_u32_e32 v0, vcc, 1, v2
	v_addc_co_u32_e32 v1, vcc, 0, v3, vcc
	v_ashrrev_i32_e32 v5, 31, v7
	v_add_co_u32_e32 v4, vcc, v2, v7
	v_addc_co_u32_e32 v5, vcc, v3, v5, vcc
	v_cmp_gt_u64_e32 vcc, v[0:1], v[4:5]
	s_cbranch_vccnz .LBB1_80
; %bb.72:
	ds_read_u8 v8, v6 offset:17000
	s_movk_i32 s6, 0x494e
	s_movk_i32 s7, 0x491a
	s_branch .LBB1_74
.LBB1_73:                               ;   in Loop: Header=BB1_74 Depth=1
	v_add_co_u32_e32 v0, vcc, 1, v0
	v_addc_co_u32_e32 v1, vcc, 0, v1, vcc
	s_waitcnt lgkmcnt(0)
	v_ashrrev_i32_e32 v5, 31, v7
	v_add_co_u32_e32 v4, vcc, v2, v7
	v_addc_co_u32_e32 v5, vcc, v3, v5, vcc
	v_cmp_le_u64_e32 vcc, v[0:1], v[4:5]
	s_add_i32 s6, s6, 64
	s_addk_i32 s7, 0x80
	s_cbranch_vccz .LBB1_80
.LBB1_74:                               ; =>This Inner Loop Header: Depth=1
	s_waitcnt lgkmcnt(0)
	v_cmp_ne_u16_sdwa s[4:5], v8, v6 src0_sel:BYTE_0 src1_sel:DWORD
	s_and_b64 vcc, exec, s[4:5]
	s_cbranch_vccz .LBB1_79
; %bb.75:                               ;   in Loop: Header=BB1_74 Depth=1
	v_mov_b32_e32 v4, s7
	ds_read_u8 v4, v4
	s_waitcnt lgkmcnt(0)
	v_and_b32_e32 v4, 1, v4
	s_cbranch_execnz .LBB1_77
.LBB1_76:                               ;   in Loop: Header=BB1_74 Depth=1
	v_mov_b32_e32 v4, s6
	ds_read_u16 v4, v4
	s_waitcnt lgkmcnt(0)
	v_bfe_u32 v4, v4, 6, 1
.LBB1_77:                               ;   in Loop: Header=BB1_74 Depth=1
	v_cmp_eq_u32_e32 vcc, 0, v4
	s_cbranch_vccnz .LBB1_73
; %bb.78:                               ;   in Loop: Header=BB1_74 Depth=1
	s_memrealtime s[4:5]
	ds_read_u8 v8, v6 offset:17000
	ds_read_b32 v2, v6 offset:16496
	ds_read_b64 v[4:5], v6 offset:16600
	s_waitcnt lgkmcnt(0)
	v_ashrrev_i32_e32 v3, 31, v2
	v_lshlrev_b64 v[2:3], 10, v[2:3]
	v_add_co_u32_e32 v2, vcc, v4, v2
	v_and_b32_e32 v4, 63, v0
	v_addc_co_u32_e32 v3, vcc, v5, v3, vcc
	v_lshlrev_b32_e32 v4, 4, v4
	v_add_co_u32_e32 v4, vcc, v2, v4
	v_addc_co_u32_e32 v5, vcc, 0, v3, vcc
	v_mov_b32_e32 v2, s4
	v_mov_b32_e32 v3, s5
	flat_store_dwordx4 v[4:5], v[0:3]
	ds_read_b64 v[2:3], v6 offset:16976
	ds_read_b32 v7, v6 offset:17004
	s_branch .LBB1_73
.LBB1_79:                               ;   in Loop: Header=BB1_74 Depth=1
                                        ; implicit-def: $vgpr4
	s_branch .LBB1_76
.LBB1_80:
	v_mov_b32_e32 v2, 0
	ds_read_b32 v3, v2 offset:16496
	ds_read_b64 v[0:1], v2 offset:16448
	s_movk_i32 s4, 0x180
	ds_write_b64 v2, v[4:5] offset:16976
	s_waitcnt lgkmcnt(0)
	v_mul_hi_i32 v2, v3, s4
	v_mul_lo_u32 v3, v3, s4
	v_add_co_u32_e32 v0, vcc, v0, v3
	v_addc_co_u32_e32 v1, vcc, v1, v2, vcc
	flat_store_dwordx2 v[0:1], v[4:5] offset:464
.LBB1_81:
	s_endpgm
.LBB1_82:
	s_movk_i32 s4, 0x44
	v_cmp_eq_u32_e32 vcc, 1, v12
	v_cmp_gt_u32_e64 s[4:5], s4, v11
	s_and_b64 s[46:47], s[4:5], vcc
	v_lshlrev_b64 v[44:45], v11, 1
	s_movk_i32 s4, 0x160
	v_mov_b32_e32 v0, 0xffffeb98
	v_add_co_u32_e32 v56, vcc, -1, v44
	s_add_u32 s49, s36, 48
	v_cmp_eq_u32_e64 s[42:43], 64, v11
	v_mad_u32_u24 v41, v11, s4, v0
	v_and_b32_e32 v46, 63, v11
	v_mul_u32_u24_e32 v47, 0x1010, v12
	v_addc_co_u32_e32 v57, vcc, -1, v45, vcc
	s_addc_u32 s50, s37, 0
	s_movk_i32 s51, 0x58
	s_movk_i32 s52, 0xffc0
	v_mov_b32_e32 v58, 0x57
	v_mov_b32_e32 v59, 0x54
	;; [unrolled: 1-line block ×7, first 2 shown]
	s_branch .LBB1_84
.LBB1_83:                               ;   in Loop: Header=BB1_84 Depth=1
	s_waitcnt lgkmcnt(0)
	s_barrier
	ds_read_b32 v0, v42 offset:16500
	s_waitcnt lgkmcnt(0)
	v_readfirstlane_b32 s4, v0
	s_cmp_lg_u32 s4, 0
	s_cselect_b64 s[4:5], -1, 0
	s_and_b64 vcc, exec, s[4:5]
	s_cbranch_vccnz .LBB1_70
.LBB1_84:                               ; =>This Loop Header: Depth=1
                                        ;     Child Loop BB1_88 Depth 2
                                        ;     Child Loop BB1_579 Depth 2
	;; [unrolled: 1-line block ×3, first 2 shown]
	s_and_saveexec_b64 s[4:5], s[40:41]
	s_cbranch_execz .LBB1_94
; %bb.85:                               ;   in Loop: Header=BB1_84 Depth=1
	ds_read_b64 v[2:3], v42 offset:16976
	ds_read_b32 v4, v42 offset:17004
	s_waitcnt lgkmcnt(0)
	v_add_co_u32_e32 v0, vcc, 1, v2
	v_addc_co_u32_e32 v1, vcc, 0, v3, vcc
	s_waitcnt lgkmcnt(0)
	v_ashrrev_i32_e32 v5, 31, v4
	v_add_co_u32_e32 v6, vcc, v2, v4
	v_addc_co_u32_e32 v7, vcc, v3, v5, vcc
	v_cmp_gt_u64_e32 vcc, v[0:1], v[6:7]
	s_cbranch_vccnz .LBB1_94
; %bb.86:                               ;   in Loop: Header=BB1_84 Depth=1
	ds_read_u8 v5, v42 offset:17000
	s_movk_i32 s8, 0x494e
	s_movk_i32 s9, 0x491a
	s_branch .LBB1_88
.LBB1_87:                               ;   in Loop: Header=BB1_88 Depth=2
	v_add_co_u32_e32 v0, vcc, 1, v0
	v_addc_co_u32_e32 v1, vcc, 0, v1, vcc
	s_waitcnt lgkmcnt(0)
	v_ashrrev_i32_e32 v7, 31, v4
	v_add_co_u32_e32 v6, vcc, v2, v4
	v_addc_co_u32_e32 v7, vcc, v3, v7, vcc
	v_cmp_le_u64_e32 vcc, v[0:1], v[6:7]
	s_add_i32 s8, s8, 64
	s_addk_i32 s9, 0x80
	s_cbranch_vccz .LBB1_94
.LBB1_88:                               ;   Parent Loop BB1_84 Depth=1
                                        ; =>  This Inner Loop Header: Depth=2
	s_waitcnt lgkmcnt(0)
	v_cmp_ne_u16_sdwa s[6:7], v5, v42 src0_sel:BYTE_0 src1_sel:DWORD
	s_and_b64 vcc, exec, s[6:7]
	s_cbranch_vccz .LBB1_93
; %bb.89:                               ;   in Loop: Header=BB1_88 Depth=2
	v_mov_b32_e32 v6, s9
	ds_read_u8 v6, v6
	s_waitcnt lgkmcnt(0)
	v_and_b32_e32 v6, 1, v6
	s_cbranch_execnz .LBB1_91
.LBB1_90:                               ;   in Loop: Header=BB1_88 Depth=2
	v_mov_b32_e32 v6, s8
	ds_read_u16 v6, v6
	s_waitcnt lgkmcnt(0)
	v_bfe_u32 v6, v6, 6, 1
.LBB1_91:                               ;   in Loop: Header=BB1_88 Depth=2
	v_cmp_eq_u32_e32 vcc, 0, v6
	s_cbranch_vccnz .LBB1_87
; %bb.92:                               ;   in Loop: Header=BB1_88 Depth=2
	s_memrealtime s[6:7]
	ds_read_u8 v5, v42 offset:17000
	ds_read_b32 v2, v42 offset:16496
	ds_read_b64 v[6:7], v42 offset:16592
	v_and_b32_e32 v4, 63, v0
	v_lshlrev_b32_e32 v4, 4, v4
	s_waitcnt lgkmcnt(0)
	v_ashrrev_i32_e32 v3, 31, v2
	v_lshlrev_b64 v[2:3], 10, v[2:3]
	v_add_co_u32_e32 v2, vcc, v6, v2
	v_addc_co_u32_e32 v3, vcc, v7, v3, vcc
	v_add_co_u32_e32 v6, vcc, v2, v4
	v_addc_co_u32_e32 v7, vcc, 0, v3, vcc
	v_mov_b32_e32 v2, s6
	v_mov_b32_e32 v3, s7
	flat_store_dwordx4 v[6:7], v[0:3]
	ds_read_b64 v[2:3], v42 offset:16976
	ds_read_b32 v4, v42 offset:17004
	s_branch .LBB1_87
.LBB1_93:                               ;   in Loop: Header=BB1_88 Depth=2
                                        ; implicit-def: $vgpr6
	s_branch .LBB1_90
.LBB1_94:                               ;   in Loop: Header=BB1_84 Depth=1
	s_or_b64 exec, exec, s[4:5]
	ds_read_u16 v0, v42 offset:17002
	s_mov_b64 s[4:5], -1
	s_waitcnt lgkmcnt(0)
	v_cmp_lt_u32_e32 vcc, s51, v0
	v_readfirstlane_b32 s53, v0
	s_cbranch_vccz .LBB1_259
; %bb.95:                               ;   in Loop: Header=BB1_84 Depth=1
	s_cmpk_gt_u32 s53, 0x85
	s_cbranch_scc0 .LBB1_174
; %bb.96:                               ;   in Loop: Header=BB1_84 Depth=1
	s_cmpk_gt_u32 s53, 0x9b
	s_cbranch_scc0 .LBB1_136
	;; [unrolled: 3-line block ×5, first 2 shown]
; %bb.100:                              ;   in Loop: Header=BB1_84 Depth=1
	s_cmpk_gt_u32 s53, 0xb1
	s_cbranch_scc0 .LBB1_102
; %bb.101:                              ;   in Loop: Header=BB1_84 Depth=1
	s_add_u32 s8, s36, 0x1000
	s_addc_u32 s9, s37, 0
	s_mov_b64 s[4:5], s[38:39]
	s_mov_b64 s[10:11], s[34:35]
	s_mov_b32 s12, s45
	s_mov_b32 s13, s44
	;; [unrolled: 1-line block ×3, first 2 shown]
	v_mov_b32_e32 v31, v40
	s_getpc_b64 s[6:7]
	s_add_u32 s6, s6, _Z50ncclDevFunc_AlltoAllPivot_RING_SIMPLE_Sum_i8_0_0_2v@rel32@lo+4
	s_addc_u32 s7, s7, _Z50ncclDevFunc_AlltoAllPivot_RING_SIMPLE_Sum_i8_0_0_2v@rel32@hi+12
	s_swappc_b64 s[30:31], s[6:7]
	s_mov_b64 s[4:5], 0
.LBB1_102:                              ;   in Loop: Header=BB1_84 Depth=1
	s_andn2_b64 vcc, exec, s[4:5]
	s_cbranch_vccnz .LBB1_104
; %bb.103:                              ;   in Loop: Header=BB1_84 Depth=1
	s_add_u32 s8, s36, 0x1000
	s_addc_u32 s9, s37, 0
	s_mov_b64 s[4:5], s[38:39]
	s_mov_b64 s[10:11], s[34:35]
	s_mov_b32 s12, s45
	s_mov_b32 s13, s44
	;; [unrolled: 1-line block ×3, first 2 shown]
	v_mov_b32_e32 v31, v40
	s_getpc_b64 s[6:7]
	s_add_u32 s6, s6, _Z45ncclDevFunc_SendRecv_RING_SIMPLE_Sum_i8_0_0_2v@rel32@lo+4
	s_addc_u32 s7, s7, _Z45ncclDevFunc_SendRecv_RING_SIMPLE_Sum_i8_0_0_2v@rel32@hi+12
	s_swappc_b64 s[30:31], s[6:7]
.LBB1_104:                              ;   in Loop: Header=BB1_84 Depth=1
	s_mov_b64 s[4:5], 0
.LBB1_105:                              ;   in Loop: Header=BB1_84 Depth=1
	s_andn2_b64 vcc, exec, s[4:5]
	s_cbranch_vccnz .LBB1_110
; %bb.106:                              ;   in Loop: Header=BB1_84 Depth=1
	s_cmpk_lg_i32 s53, 0xad
	s_mov_b64 s[4:5], -1
	s_cbranch_scc0 .LBB1_108
; %bb.107:                              ;   in Loop: Header=BB1_84 Depth=1
	s_add_u32 s8, s36, 0x1000
	s_addc_u32 s9, s37, 0
	s_mov_b64 s[4:5], s[38:39]
	s_mov_b64 s[10:11], s[34:35]
	s_mov_b32 s12, s45
	s_mov_b32 s13, s44
	;; [unrolled: 1-line block ×3, first 2 shown]
	v_mov_b32_e32 v31, v40
	s_getpc_b64 s[6:7]
	s_add_u32 s6, s6, _Z54ncclDevFunc_AllReduce_RING_SIMPLE_SumPostDiv_u64_0_0_2v@rel32@lo+4
	s_addc_u32 s7, s7, _Z54ncclDevFunc_AllReduce_RING_SIMPLE_SumPostDiv_u64_0_0_2v@rel32@hi+12
	s_swappc_b64 s[30:31], s[6:7]
	s_mov_b64 s[4:5], 0
.LBB1_108:                              ;   in Loop: Header=BB1_84 Depth=1
	s_andn2_b64 vcc, exec, s[4:5]
	s_cbranch_vccnz .LBB1_110
; %bb.109:                              ;   in Loop: Header=BB1_84 Depth=1
	s_add_u32 s8, s36, 0x1000
	s_addc_u32 s9, s37, 0
	s_mov_b64 s[4:5], s[38:39]
	s_mov_b64 s[10:11], s[34:35]
	s_mov_b32 s12, s45
	s_mov_b32 s13, s44
	;; [unrolled: 1-line block ×3, first 2 shown]
	v_mov_b32_e32 v31, v40
	s_getpc_b64 s[6:7]
	s_add_u32 s6, s6, _Z54ncclDevFunc_AllReduce_RING_SIMPLE_SumPostDiv_u32_0_0_2v@rel32@lo+4
	s_addc_u32 s7, s7, _Z54ncclDevFunc_AllReduce_RING_SIMPLE_SumPostDiv_u32_0_0_2v@rel32@hi+12
	s_swappc_b64 s[30:31], s[6:7]
.LBB1_110:                              ;   in Loop: Header=BB1_84 Depth=1
	s_mov_b64 s[4:5], 0
.LBB1_111:                              ;   in Loop: Header=BB1_84 Depth=1
	s_andn2_b64 vcc, exec, s[4:5]
	s_cbranch_vccnz .LBB1_119
; %bb.112:                              ;   in Loop: Header=BB1_84 Depth=1
	s_cmpk_gt_u32 s53, 0xa9
	s_mov_b64 s[4:5], -1
	s_cbranch_scc0 .LBB1_114
; %bb.113:                              ;   in Loop: Header=BB1_84 Depth=1
	s_add_u32 s8, s36, 0x1000
	s_addc_u32 s9, s37, 0
	s_mov_b64 s[4:5], s[38:39]
	s_mov_b64 s[10:11], s[34:35]
	s_mov_b32 s12, s45
	s_mov_b32 s13, s44
	;; [unrolled: 1-line block ×3, first 2 shown]
	v_mov_b32_e32 v31, v40
	s_getpc_b64 s[6:7]
	s_add_u32 s6, s6, _Z53ncclDevFunc_AllReduce_RING_SIMPLE_SumPostDiv_u8_0_0_2v@rel32@lo+4
	s_addc_u32 s7, s7, _Z53ncclDevFunc_AllReduce_RING_SIMPLE_SumPostDiv_u8_0_0_2v@rel32@hi+12
	s_swappc_b64 s[30:31], s[6:7]
	s_mov_b64 s[4:5], 0
.LBB1_114:                              ;   in Loop: Header=BB1_84 Depth=1
	s_andn2_b64 vcc, exec, s[4:5]
	s_cbranch_vccnz .LBB1_119
; %bb.115:                              ;   in Loop: Header=BB1_84 Depth=1
	s_cmpk_lg_i32 s53, 0xa7
	s_mov_b64 s[4:5], -1
	s_cbranch_scc0 .LBB1_117
; %bb.116:                              ;   in Loop: Header=BB1_84 Depth=1
	s_add_u32 s8, s36, 0x1000
	s_addc_u32 s9, s37, 0
	s_mov_b64 s[4:5], s[38:39]
	s_mov_b64 s[10:11], s[34:35]
	s_mov_b32 s12, s45
	s_mov_b32 s13, s44
	;; [unrolled: 1-line block ×3, first 2 shown]
	v_mov_b32_e32 v31, v40
	s_getpc_b64 s[6:7]
	s_add_u32 s6, s6, _Z56ncclDevFunc_AllReduce_RING_SIMPLE_PreMulSum_f8e5m2_0_0_2v@rel32@lo+4
	s_addc_u32 s7, s7, _Z56ncclDevFunc_AllReduce_RING_SIMPLE_PreMulSum_f8e5m2_0_0_2v@rel32@hi+12
	s_swappc_b64 s[30:31], s[6:7]
	s_mov_b64 s[4:5], 0
.LBB1_117:                              ;   in Loop: Header=BB1_84 Depth=1
	s_andn2_b64 vcc, exec, s[4:5]
	s_cbranch_vccnz .LBB1_119
; %bb.118:                              ;   in Loop: Header=BB1_84 Depth=1
	s_add_u32 s8, s36, 0x1000
	s_addc_u32 s9, s37, 0
	s_mov_b64 s[4:5], s[38:39]
	s_mov_b64 s[10:11], s[34:35]
	s_mov_b32 s12, s45
	s_mov_b32 s13, s44
	;; [unrolled: 1-line block ×3, first 2 shown]
	v_mov_b32_e32 v31, v40
	s_getpc_b64 s[6:7]
	s_add_u32 s6, s6, _Z56ncclDevFunc_AllReduce_RING_SIMPLE_PreMulSum_f8e4m3_0_0_2v@rel32@lo+4
	s_addc_u32 s7, s7, _Z56ncclDevFunc_AllReduce_RING_SIMPLE_PreMulSum_f8e4m3_0_0_2v@rel32@hi+12
	s_swappc_b64 s[30:31], s[6:7]
.LBB1_119:                              ;   in Loop: Header=BB1_84 Depth=1
	s_mov_b64 s[4:5], 0
.LBB1_120:                              ;   in Loop: Header=BB1_84 Depth=1
	s_andn2_b64 vcc, exec, s[4:5]
	s_cbranch_vccnz .LBB1_135
; %bb.121:                              ;   in Loop: Header=BB1_84 Depth=1
	s_cmpk_gt_u32 s53, 0xa0
	s_mov_b64 s[4:5], -1
	s_cbranch_scc0 .LBB1_130
; %bb.122:                              ;   in Loop: Header=BB1_84 Depth=1
	s_cmpk_gt_u32 s53, 0xa3
	s_cbranch_scc0 .LBB1_124
; %bb.123:                              ;   in Loop: Header=BB1_84 Depth=1
	s_add_u32 s8, s36, 0x1000
	s_addc_u32 s9, s37, 0
	s_mov_b64 s[4:5], s[38:39]
	s_mov_b64 s[10:11], s[34:35]
	s_mov_b32 s12, s45
	s_mov_b32 s13, s44
	;; [unrolled: 1-line block ×3, first 2 shown]
	v_mov_b32_e32 v31, v40
	s_getpc_b64 s[6:7]
	s_add_u32 s6, s6, _Z54ncclDevFunc_AllReduce_RING_SIMPLE_PreMulSum_bf16_0_1_2v@rel32@lo+4
	s_addc_u32 s7, s7, _Z54ncclDevFunc_AllReduce_RING_SIMPLE_PreMulSum_bf16_0_1_2v@rel32@hi+12
	s_swappc_b64 s[30:31], s[6:7]
	s_mov_b64 s[4:5], 0
.LBB1_124:                              ;   in Loop: Header=BB1_84 Depth=1
	s_andn2_b64 vcc, exec, s[4:5]
	s_cbranch_vccnz .LBB1_129
; %bb.125:                              ;   in Loop: Header=BB1_84 Depth=1
	s_cmpk_lg_i32 s53, 0xa1
	s_mov_b64 s[4:5], -1
	s_cbranch_scc0 .LBB1_127
; %bb.126:                              ;   in Loop: Header=BB1_84 Depth=1
	s_add_u32 s8, s36, 0x1000
	s_addc_u32 s9, s37, 0
	s_mov_b64 s[4:5], s[38:39]
	s_mov_b64 s[10:11], s[34:35]
	s_mov_b32 s12, s45
	s_mov_b32 s13, s44
	;; [unrolled: 1-line block ×3, first 2 shown]
	v_mov_b32_e32 v31, v40
	s_getpc_b64 s[6:7]
	s_add_u32 s6, s6, _Z54ncclDevFunc_AllReduce_RING_SIMPLE_PreMulSum_bf16_0_0_2v@rel32@lo+4
	s_addc_u32 s7, s7, _Z54ncclDevFunc_AllReduce_RING_SIMPLE_PreMulSum_bf16_0_0_2v@rel32@hi+12
	s_swappc_b64 s[30:31], s[6:7]
	s_mov_b64 s[4:5], 0
.LBB1_127:                              ;   in Loop: Header=BB1_84 Depth=1
	s_andn2_b64 vcc, exec, s[4:5]
	s_cbranch_vccnz .LBB1_129
; %bb.128:                              ;   in Loop: Header=BB1_84 Depth=1
	s_add_u32 s8, s36, 0x1000
	s_addc_u32 s9, s37, 0
	s_mov_b64 s[4:5], s[38:39]
	s_mov_b64 s[10:11], s[34:35]
	s_mov_b32 s12, s45
	s_mov_b32 s13, s44
	;; [unrolled: 1-line block ×3, first 2 shown]
	v_mov_b32_e32 v31, v40
	s_getpc_b64 s[6:7]
	s_add_u32 s6, s6, _Z53ncclDevFunc_AllReduce_RING_SIMPLE_PreMulSum_f64_0_0_2v@rel32@lo+4
	s_addc_u32 s7, s7, _Z53ncclDevFunc_AllReduce_RING_SIMPLE_PreMulSum_f64_0_0_2v@rel32@hi+12
	s_swappc_b64 s[30:31], s[6:7]
.LBB1_129:                              ;   in Loop: Header=BB1_84 Depth=1
	s_mov_b64 s[4:5], 0
.LBB1_130:                              ;   in Loop: Header=BB1_84 Depth=1
	s_andn2_b64 vcc, exec, s[4:5]
	s_cbranch_vccnz .LBB1_135
; %bb.131:                              ;   in Loop: Header=BB1_84 Depth=1
	s_cmpk_gt_u32 s53, 0x9d
	s_mov_b64 s[4:5], -1
	s_cbranch_scc0 .LBB1_133
; %bb.132:                              ;   in Loop: Header=BB1_84 Depth=1
	s_add_u32 s8, s36, 0x1000
	s_addc_u32 s9, s37, 0
	s_mov_b64 s[4:5], s[38:39]
	s_mov_b64 s[10:11], s[34:35]
	s_mov_b32 s12, s45
	s_mov_b32 s13, s44
	;; [unrolled: 1-line block ×3, first 2 shown]
	v_mov_b32_e32 v31, v40
	s_getpc_b64 s[6:7]
	s_add_u32 s6, s6, _Z53ncclDevFunc_AllReduce_RING_SIMPLE_PreMulSum_f32_0_0_2v@rel32@lo+4
	s_addc_u32 s7, s7, _Z53ncclDevFunc_AllReduce_RING_SIMPLE_PreMulSum_f32_0_0_2v@rel32@hi+12
	s_swappc_b64 s[30:31], s[6:7]
	s_mov_b64 s[4:5], 0
.LBB1_133:                              ;   in Loop: Header=BB1_84 Depth=1
	s_andn2_b64 vcc, exec, s[4:5]
	s_cbranch_vccnz .LBB1_135
; %bb.134:                              ;   in Loop: Header=BB1_84 Depth=1
	s_add_u32 s8, s36, 0x1000
	s_addc_u32 s9, s37, 0
	s_mov_b64 s[4:5], s[38:39]
	s_mov_b64 s[10:11], s[34:35]
	s_mov_b32 s12, s45
	s_mov_b32 s13, s44
	;; [unrolled: 1-line block ×3, first 2 shown]
	v_mov_b32_e32 v31, v40
	s_getpc_b64 s[6:7]
	s_add_u32 s6, s6, _Z53ncclDevFunc_AllReduce_RING_SIMPLE_PreMulSum_f16_0_0_2v@rel32@lo+4
	s_addc_u32 s7, s7, _Z53ncclDevFunc_AllReduce_RING_SIMPLE_PreMulSum_f16_0_0_2v@rel32@hi+12
	s_swappc_b64 s[30:31], s[6:7]
.LBB1_135:                              ;   in Loop: Header=BB1_84 Depth=1
	s_mov_b64 s[4:5], 0
.LBB1_136:                              ;   in Loop: Header=BB1_84 Depth=1
	s_andn2_b64 vcc, exec, s[4:5]
	s_cbranch_vccnz .LBB1_173
; %bb.137:                              ;   in Loop: Header=BB1_84 Depth=1
	s_cmpk_gt_u32 s53, 0x90
	s_mov_b64 s[4:5], -1
	s_cbranch_scc0 .LBB1_154
; %bb.138:                              ;   in Loop: Header=BB1_84 Depth=1
	s_cmpk_gt_u32 s53, 0x95
	s_cbranch_scc0 .LBB1_148
; %bb.139:                              ;   in Loop: Header=BB1_84 Depth=1
	s_cmpk_gt_u32 s53, 0x98
	s_cbranch_scc0 .LBB1_145
; %bb.140:                              ;   in Loop: Header=BB1_84 Depth=1
	s_cmpk_lg_i32 s53, 0x99
	s_cbranch_scc0 .LBB1_142
; %bb.141:                              ;   in Loop: Header=BB1_84 Depth=1
	s_add_u32 s8, s36, 0x1000
	s_addc_u32 s9, s37, 0
	s_mov_b64 s[4:5], s[38:39]
	s_mov_b64 s[10:11], s[34:35]
	s_mov_b32 s12, s45
	s_mov_b32 s13, s44
	;; [unrolled: 1-line block ×3, first 2 shown]
	v_mov_b32_e32 v31, v40
	s_getpc_b64 s[6:7]
	s_add_u32 s6, s6, _Z53ncclDevFunc_AllReduce_RING_SIMPLE_PreMulSum_u64_0_0_2v@rel32@lo+4
	s_addc_u32 s7, s7, _Z53ncclDevFunc_AllReduce_RING_SIMPLE_PreMulSum_u64_0_0_2v@rel32@hi+12
	s_swappc_b64 s[30:31], s[6:7]
	s_mov_b64 s[4:5], 0
.LBB1_142:                              ;   in Loop: Header=BB1_84 Depth=1
	s_andn2_b64 vcc, exec, s[4:5]
	s_cbranch_vccnz .LBB1_144
; %bb.143:                              ;   in Loop: Header=BB1_84 Depth=1
	s_add_u32 s8, s36, 0x1000
	s_addc_u32 s9, s37, 0
	s_mov_b64 s[4:5], s[38:39]
	s_mov_b64 s[10:11], s[34:35]
	s_mov_b32 s12, s45
	s_mov_b32 s13, s44
	;; [unrolled: 1-line block ×3, first 2 shown]
	v_mov_b32_e32 v31, v40
	s_getpc_b64 s[6:7]
	s_add_u32 s6, s6, _Z53ncclDevFunc_AllReduce_RING_SIMPLE_PreMulSum_u32_0_0_2v@rel32@lo+4
	s_addc_u32 s7, s7, _Z53ncclDevFunc_AllReduce_RING_SIMPLE_PreMulSum_u32_0_0_2v@rel32@hi+12
	s_swappc_b64 s[30:31], s[6:7]
.LBB1_144:                              ;   in Loop: Header=BB1_84 Depth=1
	s_mov_b64 s[4:5], 0
.LBB1_145:                              ;   in Loop: Header=BB1_84 Depth=1
	s_andn2_b64 vcc, exec, s[4:5]
	s_cbranch_vccnz .LBB1_147
; %bb.146:                              ;   in Loop: Header=BB1_84 Depth=1
	s_add_u32 s8, s36, 0x1000
	s_addc_u32 s9, s37, 0
	s_mov_b64 s[4:5], s[38:39]
	s_mov_b64 s[10:11], s[34:35]
	s_mov_b32 s12, s45
	s_mov_b32 s13, s44
	;; [unrolled: 1-line block ×3, first 2 shown]
	v_mov_b32_e32 v31, v40
	s_getpc_b64 s[6:7]
	s_add_u32 s6, s6, _Z52ncclDevFunc_AllReduce_RING_SIMPLE_PreMulSum_u8_0_0_2v@rel32@lo+4
	s_addc_u32 s7, s7, _Z52ncclDevFunc_AllReduce_RING_SIMPLE_PreMulSum_u8_0_0_2v@rel32@hi+12
	s_swappc_b64 s[30:31], s[6:7]
.LBB1_147:                              ;   in Loop: Header=BB1_84 Depth=1
	s_mov_b64 s[4:5], 0
.LBB1_148:                              ;   in Loop: Header=BB1_84 Depth=1
	s_andn2_b64 vcc, exec, s[4:5]
	s_cbranch_vccnz .LBB1_153
; %bb.149:                              ;   in Loop: Header=BB1_84 Depth=1
	s_cmpk_gt_u32 s53, 0x93
	s_mov_b64 s[4:5], -1
	s_cbranch_scc0 .LBB1_151
; %bb.150:                              ;   in Loop: Header=BB1_84 Depth=1
	s_add_u32 s8, s36, 0x1000
	s_addc_u32 s9, s37, 0
	s_mov_b64 s[4:5], s[38:39]
	s_mov_b64 s[10:11], s[34:35]
	s_mov_b32 s12, s45
	s_mov_b32 s13, s44
	;; [unrolled: 1-line block ×3, first 2 shown]
	v_mov_b32_e32 v31, v40
	s_getpc_b64 s[6:7]
	s_add_u32 s6, s6, _Z53ncclDevFunc_AllReduce_RING_SIMPLE_MinMax_f8e5m2_0_0_2v@rel32@lo+4
	s_addc_u32 s7, s7, _Z53ncclDevFunc_AllReduce_RING_SIMPLE_MinMax_f8e5m2_0_0_2v@rel32@hi+12
	s_swappc_b64 s[30:31], s[6:7]
	s_mov_b64 s[4:5], 0
.LBB1_151:                              ;   in Loop: Header=BB1_84 Depth=1
	s_andn2_b64 vcc, exec, s[4:5]
	s_cbranch_vccnz .LBB1_153
; %bb.152:                              ;   in Loop: Header=BB1_84 Depth=1
	s_add_u32 s8, s36, 0x1000
	s_addc_u32 s9, s37, 0
	s_mov_b64 s[4:5], s[38:39]
	s_mov_b64 s[10:11], s[34:35]
	s_mov_b32 s12, s45
	s_mov_b32 s13, s44
	s_mov_b32 s14, s33
	v_mov_b32_e32 v31, v40
	s_getpc_b64 s[6:7]
	s_add_u32 s6, s6, _Z53ncclDevFunc_AllReduce_RING_SIMPLE_MinMax_f8e4m3_0_0_2v@rel32@lo+4
	s_addc_u32 s7, s7, _Z53ncclDevFunc_AllReduce_RING_SIMPLE_MinMax_f8e4m3_0_0_2v@rel32@hi+12
	s_swappc_b64 s[30:31], s[6:7]
.LBB1_153:                              ;   in Loop: Header=BB1_84 Depth=1
	s_mov_b64 s[4:5], 0
.LBB1_154:                              ;   in Loop: Header=BB1_84 Depth=1
	s_andn2_b64 vcc, exec, s[4:5]
	s_cbranch_vccnz .LBB1_173
; %bb.155:                              ;   in Loop: Header=BB1_84 Depth=1
	s_cmpk_gt_u32 s53, 0x8a
	s_mov_b64 s[4:5], -1
	s_cbranch_scc0 .LBB1_168
; %bb.156:                              ;   in Loop: Header=BB1_84 Depth=1
	s_cmpk_gt_u32 s53, 0x8d
	s_cbranch_scc0 .LBB1_162
; %bb.157:                              ;   in Loop: Header=BB1_84 Depth=1
	s_cmpk_eq_i32 s53, 0x90
	s_cbranch_scc1 .LBB1_159
; %bb.158:                              ;   in Loop: Header=BB1_84 Depth=1
	s_add_u32 s8, s36, 0x1000
	s_addc_u32 s9, s37, 0
	s_mov_b64 s[4:5], s[38:39]
	s_mov_b64 s[10:11], s[34:35]
	s_mov_b32 s12, s45
	s_mov_b32 s13, s44
	;; [unrolled: 1-line block ×3, first 2 shown]
	v_mov_b32_e32 v31, v40
	s_getpc_b64 s[6:7]
	s_add_u32 s6, s6, _Z51ncclDevFunc_AllReduce_RING_SIMPLE_MinMax_bf16_0_0_2v@rel32@lo+4
	s_addc_u32 s7, s7, _Z51ncclDevFunc_AllReduce_RING_SIMPLE_MinMax_bf16_0_0_2v@rel32@hi+12
	s_swappc_b64 s[30:31], s[6:7]
	s_mov_b64 s[4:5], 0
.LBB1_159:                              ;   in Loop: Header=BB1_84 Depth=1
	s_andn2_b64 vcc, exec, s[4:5]
	s_cbranch_vccnz .LBB1_161
; %bb.160:                              ;   in Loop: Header=BB1_84 Depth=1
	s_add_u32 s8, s36, 0x1000
	s_addc_u32 s9, s37, 0
	s_mov_b64 s[4:5], s[38:39]
	s_mov_b64 s[10:11], s[34:35]
	s_mov_b32 s12, s45
	s_mov_b32 s13, s44
	;; [unrolled: 1-line block ×3, first 2 shown]
	v_mov_b32_e32 v31, v40
	s_getpc_b64 s[6:7]
	s_add_u32 s6, s6, _Z51ncclDevFunc_AllReduce_RING_SIMPLE_MinMax_bf16_0_1_2v@rel32@lo+4
	s_addc_u32 s7, s7, _Z51ncclDevFunc_AllReduce_RING_SIMPLE_MinMax_bf16_0_1_2v@rel32@hi+12
	s_swappc_b64 s[30:31], s[6:7]
.LBB1_161:                              ;   in Loop: Header=BB1_84 Depth=1
	s_mov_b64 s[4:5], 0
.LBB1_162:                              ;   in Loop: Header=BB1_84 Depth=1
	s_andn2_b64 vcc, exec, s[4:5]
	s_cbranch_vccnz .LBB1_167
; %bb.163:                              ;   in Loop: Header=BB1_84 Depth=1
	s_cmpk_lg_i32 s53, 0x8b
	s_mov_b64 s[4:5], -1
	s_cbranch_scc0 .LBB1_165
; %bb.164:                              ;   in Loop: Header=BB1_84 Depth=1
	s_add_u32 s8, s36, 0x1000
	s_addc_u32 s9, s37, 0
	s_mov_b64 s[4:5], s[38:39]
	s_mov_b64 s[10:11], s[34:35]
	s_mov_b32 s12, s45
	s_mov_b32 s13, s44
	;; [unrolled: 1-line block ×3, first 2 shown]
	v_mov_b32_e32 v31, v40
	s_getpc_b64 s[6:7]
	s_add_u32 s6, s6, _Z50ncclDevFunc_AllReduce_RING_SIMPLE_MinMax_f64_0_0_2v@rel32@lo+4
	s_addc_u32 s7, s7, _Z50ncclDevFunc_AllReduce_RING_SIMPLE_MinMax_f64_0_0_2v@rel32@hi+12
	s_swappc_b64 s[30:31], s[6:7]
	s_mov_b64 s[4:5], 0
.LBB1_165:                              ;   in Loop: Header=BB1_84 Depth=1
	s_andn2_b64 vcc, exec, s[4:5]
	s_cbranch_vccnz .LBB1_167
; %bb.166:                              ;   in Loop: Header=BB1_84 Depth=1
	s_add_u32 s8, s36, 0x1000
	s_addc_u32 s9, s37, 0
	s_mov_b64 s[4:5], s[38:39]
	s_mov_b64 s[10:11], s[34:35]
	s_mov_b32 s12, s45
	s_mov_b32 s13, s44
	;; [unrolled: 1-line block ×3, first 2 shown]
	v_mov_b32_e32 v31, v40
	s_getpc_b64 s[6:7]
	s_add_u32 s6, s6, _Z50ncclDevFunc_AllReduce_RING_SIMPLE_MinMax_f32_0_0_2v@rel32@lo+4
	s_addc_u32 s7, s7, _Z50ncclDevFunc_AllReduce_RING_SIMPLE_MinMax_f32_0_0_2v@rel32@hi+12
	s_swappc_b64 s[30:31], s[6:7]
.LBB1_167:                              ;   in Loop: Header=BB1_84 Depth=1
	s_mov_b64 s[4:5], 0
.LBB1_168:                              ;   in Loop: Header=BB1_84 Depth=1
	s_andn2_b64 vcc, exec, s[4:5]
	s_cbranch_vccnz .LBB1_173
; %bb.169:                              ;   in Loop: Header=BB1_84 Depth=1
	s_cmpk_gt_u32 s53, 0x87
	s_mov_b64 s[4:5], -1
	s_cbranch_scc0 .LBB1_171
; %bb.170:                              ;   in Loop: Header=BB1_84 Depth=1
	s_add_u32 s8, s36, 0x1000
	s_addc_u32 s9, s37, 0
	s_mov_b64 s[4:5], s[38:39]
	s_mov_b64 s[10:11], s[34:35]
	s_mov_b32 s12, s45
	s_mov_b32 s13, s44
	;; [unrolled: 1-line block ×3, first 2 shown]
	v_mov_b32_e32 v31, v40
	s_getpc_b64 s[6:7]
	s_add_u32 s6, s6, _Z50ncclDevFunc_AllReduce_RING_SIMPLE_MinMax_f16_0_0_2v@rel32@lo+4
	s_addc_u32 s7, s7, _Z50ncclDevFunc_AllReduce_RING_SIMPLE_MinMax_f16_0_0_2v@rel32@hi+12
	s_swappc_b64 s[30:31], s[6:7]
	s_mov_b64 s[4:5], 0
.LBB1_171:                              ;   in Loop: Header=BB1_84 Depth=1
	s_andn2_b64 vcc, exec, s[4:5]
	s_cbranch_vccnz .LBB1_173
; %bb.172:                              ;   in Loop: Header=BB1_84 Depth=1
	s_add_u32 s8, s36, 0x1000
	s_addc_u32 s9, s37, 0
	s_mov_b64 s[4:5], s[38:39]
	s_mov_b64 s[10:11], s[34:35]
	s_mov_b32 s12, s45
	s_mov_b32 s13, s44
	;; [unrolled: 1-line block ×3, first 2 shown]
	v_mov_b32_e32 v31, v40
	s_getpc_b64 s[6:7]
	s_add_u32 s6, s6, _Z50ncclDevFunc_AllReduce_RING_SIMPLE_MinMax_u64_0_0_2v@rel32@lo+4
	s_addc_u32 s7, s7, _Z50ncclDevFunc_AllReduce_RING_SIMPLE_MinMax_u64_0_0_2v@rel32@hi+12
	s_swappc_b64 s[30:31], s[6:7]
.LBB1_173:                              ;   in Loop: Header=BB1_84 Depth=1
	s_mov_b64 s[4:5], 0
.LBB1_174:                              ;   in Loop: Header=BB1_84 Depth=1
	s_andn2_b64 vcc, exec, s[4:5]
	s_cbranch_vccnz .LBB1_258
; %bb.175:                              ;   in Loop: Header=BB1_84 Depth=1
	s_cmpk_gt_u32 s53, 0x6e
	s_mov_b64 s[4:5], -1
	s_cbranch_scc0 .LBB1_217
; %bb.176:                              ;   in Loop: Header=BB1_84 Depth=1
	s_cmpk_gt_u32 s53, 0x79
	s_cbranch_scc0 .LBB1_196
; %bb.177:                              ;   in Loop: Header=BB1_84 Depth=1
	s_cmpk_gt_u32 s53, 0x7f
	;; [unrolled: 3-line block ×3, first 2 shown]
	s_cbranch_scc0 .LBB1_184
; %bb.179:                              ;   in Loop: Header=BB1_84 Depth=1
	s_cmpk_lg_i32 s53, 0x83
	s_cbranch_scc0 .LBB1_181
; %bb.180:                              ;   in Loop: Header=BB1_84 Depth=1
	s_add_u32 s8, s36, 0x1000
	s_addc_u32 s9, s37, 0
	s_mov_b64 s[4:5], s[38:39]
	s_mov_b64 s[10:11], s[34:35]
	s_mov_b32 s12, s45
	s_mov_b32 s13, s44
	;; [unrolled: 1-line block ×3, first 2 shown]
	v_mov_b32_e32 v31, v40
	s_getpc_b64 s[6:7]
	s_add_u32 s6, s6, _Z50ncclDevFunc_AllReduce_RING_SIMPLE_MinMax_u32_0_0_2v@rel32@lo+4
	s_addc_u32 s7, s7, _Z50ncclDevFunc_AllReduce_RING_SIMPLE_MinMax_u32_0_0_2v@rel32@hi+12
	s_swappc_b64 s[30:31], s[6:7]
	s_mov_b64 s[4:5], 0
.LBB1_181:                              ;   in Loop: Header=BB1_84 Depth=1
	s_andn2_b64 vcc, exec, s[4:5]
	s_cbranch_vccnz .LBB1_183
; %bb.182:                              ;   in Loop: Header=BB1_84 Depth=1
	s_add_u32 s8, s36, 0x1000
	s_addc_u32 s9, s37, 0
	s_mov_b64 s[4:5], s[38:39]
	s_mov_b64 s[10:11], s[34:35]
	s_mov_b32 s12, s45
	s_mov_b32 s13, s44
	;; [unrolled: 1-line block ×3, first 2 shown]
	v_mov_b32_e32 v31, v40
	s_getpc_b64 s[6:7]
	s_add_u32 s6, s6, _Z49ncclDevFunc_AllReduce_RING_SIMPLE_MinMax_u8_0_0_2v@rel32@lo+4
	s_addc_u32 s7, s7, _Z49ncclDevFunc_AllReduce_RING_SIMPLE_MinMax_u8_0_0_2v@rel32@hi+12
	s_swappc_b64 s[30:31], s[6:7]
.LBB1_183:                              ;   in Loop: Header=BB1_84 Depth=1
	s_mov_b64 s[4:5], 0
.LBB1_184:                              ;   in Loop: Header=BB1_84 Depth=1
	s_andn2_b64 vcc, exec, s[4:5]
	s_cbranch_vccnz .LBB1_186
; %bb.185:                              ;   in Loop: Header=BB1_84 Depth=1
	s_add_u32 s8, s36, 0x1000
	s_addc_u32 s9, s37, 0
	s_mov_b64 s[4:5], s[38:39]
	s_mov_b64 s[10:11], s[34:35]
	s_mov_b32 s12, s45
	s_mov_b32 s13, s44
	s_mov_b32 s14, s33
	v_mov_b32_e32 v31, v40
	s_getpc_b64 s[6:7]
	s_add_u32 s6, s6, _Z51ncclDevFunc_AllReduce_RING_SIMPLE_Prod_f8e5m2_0_0_2v@rel32@lo+4
	s_addc_u32 s7, s7, _Z51ncclDevFunc_AllReduce_RING_SIMPLE_Prod_f8e5m2_0_0_2v@rel32@hi+12
	s_swappc_b64 s[30:31], s[6:7]
.LBB1_186:                              ;   in Loop: Header=BB1_84 Depth=1
	s_mov_b64 s[4:5], 0
.LBB1_187:                              ;   in Loop: Header=BB1_84 Depth=1
	s_andn2_b64 vcc, exec, s[4:5]
	s_cbranch_vccnz .LBB1_195
; %bb.188:                              ;   in Loop: Header=BB1_84 Depth=1
	s_cmpk_gt_u32 s53, 0x7c
	s_mov_b64 s[4:5], -1
	s_cbranch_scc0 .LBB1_190
; %bb.189:                              ;   in Loop: Header=BB1_84 Depth=1
	s_add_u32 s8, s36, 0x1000
	s_addc_u32 s9, s37, 0
	s_mov_b64 s[4:5], s[38:39]
	s_mov_b64 s[10:11], s[34:35]
	s_mov_b32 s12, s45
	s_mov_b32 s13, s44
	;; [unrolled: 1-line block ×3, first 2 shown]
	v_mov_b32_e32 v31, v40
	s_getpc_b64 s[6:7]
	s_add_u32 s6, s6, _Z51ncclDevFunc_AllReduce_RING_SIMPLE_Prod_f8e4m3_0_0_2v@rel32@lo+4
	s_addc_u32 s7, s7, _Z51ncclDevFunc_AllReduce_RING_SIMPLE_Prod_f8e4m3_0_0_2v@rel32@hi+12
	s_swappc_b64 s[30:31], s[6:7]
	s_mov_b64 s[4:5], 0
.LBB1_190:                              ;   in Loop: Header=BB1_84 Depth=1
	s_andn2_b64 vcc, exec, s[4:5]
	s_cbranch_vccnz .LBB1_195
; %bb.191:                              ;   in Loop: Header=BB1_84 Depth=1
	s_cmpk_eq_i32 s53, 0x7c
	s_mov_b64 s[4:5], -1
	s_cbranch_scc1 .LBB1_193
; %bb.192:                              ;   in Loop: Header=BB1_84 Depth=1
	s_add_u32 s8, s36, 0x1000
	s_addc_u32 s9, s37, 0
	s_mov_b64 s[4:5], s[38:39]
	s_mov_b64 s[10:11], s[34:35]
	s_mov_b32 s12, s45
	s_mov_b32 s13, s44
	;; [unrolled: 1-line block ×3, first 2 shown]
	v_mov_b32_e32 v31, v40
	s_getpc_b64 s[6:7]
	s_add_u32 s6, s6, _Z49ncclDevFunc_AllReduce_RING_SIMPLE_Prod_bf16_0_0_2v@rel32@lo+4
	s_addc_u32 s7, s7, _Z49ncclDevFunc_AllReduce_RING_SIMPLE_Prod_bf16_0_0_2v@rel32@hi+12
	s_swappc_b64 s[30:31], s[6:7]
	s_mov_b64 s[4:5], 0
.LBB1_193:                              ;   in Loop: Header=BB1_84 Depth=1
	s_andn2_b64 vcc, exec, s[4:5]
	s_cbranch_vccnz .LBB1_195
; %bb.194:                              ;   in Loop: Header=BB1_84 Depth=1
	s_add_u32 s8, s36, 0x1000
	s_addc_u32 s9, s37, 0
	s_mov_b64 s[4:5], s[38:39]
	s_mov_b64 s[10:11], s[34:35]
	s_mov_b32 s12, s45
	s_mov_b32 s13, s44
	;; [unrolled: 1-line block ×3, first 2 shown]
	v_mov_b32_e32 v31, v40
	s_getpc_b64 s[6:7]
	s_add_u32 s6, s6, _Z49ncclDevFunc_AllReduce_RING_SIMPLE_Prod_bf16_0_1_2v@rel32@lo+4
	s_addc_u32 s7, s7, _Z49ncclDevFunc_AllReduce_RING_SIMPLE_Prod_bf16_0_1_2v@rel32@hi+12
	s_swappc_b64 s[30:31], s[6:7]
.LBB1_195:                              ;   in Loop: Header=BB1_84 Depth=1
	s_mov_b64 s[4:5], 0
.LBB1_196:                              ;   in Loop: Header=BB1_84 Depth=1
	s_andn2_b64 vcc, exec, s[4:5]
	s_cbranch_vccnz .LBB1_216
; %bb.197:                              ;   in Loop: Header=BB1_84 Depth=1
	s_cmpk_gt_u32 s53, 0x73
	s_mov_b64 s[4:5], -1
	s_cbranch_scc0 .LBB1_207
; %bb.198:                              ;   in Loop: Header=BB1_84 Depth=1
	s_cmpk_gt_u32 s53, 0x76
	s_cbranch_scc0 .LBB1_204
; %bb.199:                              ;   in Loop: Header=BB1_84 Depth=1
	s_cmpk_lg_i32 s53, 0x77
	s_cbranch_scc0 .LBB1_201
; %bb.200:                              ;   in Loop: Header=BB1_84 Depth=1
	s_add_u32 s8, s36, 0x1000
	s_addc_u32 s9, s37, 0
	s_mov_b64 s[4:5], s[38:39]
	s_mov_b64 s[10:11], s[34:35]
	s_mov_b32 s12, s45
	s_mov_b32 s13, s44
	;; [unrolled: 1-line block ×3, first 2 shown]
	v_mov_b32_e32 v31, v40
	s_getpc_b64 s[6:7]
	s_add_u32 s6, s6, _Z48ncclDevFunc_AllReduce_RING_SIMPLE_Prod_f64_0_0_2v@rel32@lo+4
	s_addc_u32 s7, s7, _Z48ncclDevFunc_AllReduce_RING_SIMPLE_Prod_f64_0_0_2v@rel32@hi+12
	s_swappc_b64 s[30:31], s[6:7]
	s_mov_b64 s[4:5], 0
.LBB1_201:                              ;   in Loop: Header=BB1_84 Depth=1
	s_andn2_b64 vcc, exec, s[4:5]
	s_cbranch_vccnz .LBB1_203
; %bb.202:                              ;   in Loop: Header=BB1_84 Depth=1
	s_add_u32 s8, s36, 0x1000
	s_addc_u32 s9, s37, 0
	s_mov_b64 s[4:5], s[38:39]
	s_mov_b64 s[10:11], s[34:35]
	s_mov_b32 s12, s45
	s_mov_b32 s13, s44
	s_mov_b32 s14, s33
	v_mov_b32_e32 v31, v40
	s_getpc_b64 s[6:7]
	s_add_u32 s6, s6, _Z48ncclDevFunc_AllReduce_RING_SIMPLE_Prod_f32_0_0_2v@rel32@lo+4
	s_addc_u32 s7, s7, _Z48ncclDevFunc_AllReduce_RING_SIMPLE_Prod_f32_0_0_2v@rel32@hi+12
	s_swappc_b64 s[30:31], s[6:7]
.LBB1_203:                              ;   in Loop: Header=BB1_84 Depth=1
	s_mov_b64 s[4:5], 0
.LBB1_204:                              ;   in Loop: Header=BB1_84 Depth=1
	s_andn2_b64 vcc, exec, s[4:5]
	s_cbranch_vccnz .LBB1_206
; %bb.205:                              ;   in Loop: Header=BB1_84 Depth=1
	s_add_u32 s8, s36, 0x1000
	s_addc_u32 s9, s37, 0
	s_mov_b64 s[4:5], s[38:39]
	s_mov_b64 s[10:11], s[34:35]
	s_mov_b32 s12, s45
	s_mov_b32 s13, s44
	s_mov_b32 s14, s33
	v_mov_b32_e32 v31, v40
	s_getpc_b64 s[6:7]
	s_add_u32 s6, s6, _Z48ncclDevFunc_AllReduce_RING_SIMPLE_Prod_f16_0_0_2v@rel32@lo+4
	s_addc_u32 s7, s7, _Z48ncclDevFunc_AllReduce_RING_SIMPLE_Prod_f16_0_0_2v@rel32@hi+12
	s_swappc_b64 s[30:31], s[6:7]
.LBB1_206:                              ;   in Loop: Header=BB1_84 Depth=1
	s_mov_b64 s[4:5], 0
.LBB1_207:                              ;   in Loop: Header=BB1_84 Depth=1
	s_andn2_b64 vcc, exec, s[4:5]
	s_cbranch_vccnz .LBB1_216
; %bb.208:                              ;   in Loop: Header=BB1_84 Depth=1
	s_cmpk_gt_u32 s53, 0x70
	s_mov_b64 s[4:5], -1
	s_cbranch_scc0 .LBB1_214
; %bb.209:                              ;   in Loop: Header=BB1_84 Depth=1
	s_cmpk_lg_i32 s53, 0x71
	s_cbranch_scc0 .LBB1_211
; %bb.210:                              ;   in Loop: Header=BB1_84 Depth=1
	s_add_u32 s8, s36, 0x1000
	s_addc_u32 s9, s37, 0
	s_mov_b64 s[4:5], s[38:39]
	s_mov_b64 s[10:11], s[34:35]
	s_mov_b32 s12, s45
	s_mov_b32 s13, s44
	;; [unrolled: 1-line block ×3, first 2 shown]
	v_mov_b32_e32 v31, v40
	s_getpc_b64 s[6:7]
	s_add_u32 s6, s6, _Z48ncclDevFunc_AllReduce_RING_SIMPLE_Prod_u64_0_0_2v@rel32@lo+4
	s_addc_u32 s7, s7, _Z48ncclDevFunc_AllReduce_RING_SIMPLE_Prod_u64_0_0_2v@rel32@hi+12
	s_swappc_b64 s[30:31], s[6:7]
	s_mov_b64 s[4:5], 0
.LBB1_211:                              ;   in Loop: Header=BB1_84 Depth=1
	s_andn2_b64 vcc, exec, s[4:5]
	s_cbranch_vccnz .LBB1_213
; %bb.212:                              ;   in Loop: Header=BB1_84 Depth=1
	s_add_u32 s8, s36, 0x1000
	s_addc_u32 s9, s37, 0
	s_mov_b64 s[4:5], s[38:39]
	s_mov_b64 s[10:11], s[34:35]
	s_mov_b32 s12, s45
	s_mov_b32 s13, s44
	;; [unrolled: 1-line block ×3, first 2 shown]
	v_mov_b32_e32 v31, v40
	s_getpc_b64 s[6:7]
	s_add_u32 s6, s6, _Z48ncclDevFunc_AllReduce_RING_SIMPLE_Prod_u32_0_0_2v@rel32@lo+4
	s_addc_u32 s7, s7, _Z48ncclDevFunc_AllReduce_RING_SIMPLE_Prod_u32_0_0_2v@rel32@hi+12
	s_swappc_b64 s[30:31], s[6:7]
.LBB1_213:                              ;   in Loop: Header=BB1_84 Depth=1
	s_mov_b64 s[4:5], 0
.LBB1_214:                              ;   in Loop: Header=BB1_84 Depth=1
	s_andn2_b64 vcc, exec, s[4:5]
	s_cbranch_vccnz .LBB1_216
; %bb.215:                              ;   in Loop: Header=BB1_84 Depth=1
	s_add_u32 s8, s36, 0x1000
	s_addc_u32 s9, s37, 0
	s_mov_b64 s[4:5], s[38:39]
	s_mov_b64 s[10:11], s[34:35]
	s_mov_b32 s12, s45
	s_mov_b32 s13, s44
	;; [unrolled: 1-line block ×3, first 2 shown]
	v_mov_b32_e32 v31, v40
	s_getpc_b64 s[6:7]
	s_add_u32 s6, s6, _Z47ncclDevFunc_AllReduce_RING_SIMPLE_Prod_u8_0_0_2v@rel32@lo+4
	s_addc_u32 s7, s7, _Z47ncclDevFunc_AllReduce_RING_SIMPLE_Prod_u8_0_0_2v@rel32@hi+12
	s_swappc_b64 s[30:31], s[6:7]
.LBB1_216:                              ;   in Loop: Header=BB1_84 Depth=1
	s_mov_b64 s[4:5], 0
.LBB1_217:                              ;   in Loop: Header=BB1_84 Depth=1
	s_andn2_b64 vcc, exec, s[4:5]
	s_cbranch_vccnz .LBB1_258
; %bb.218:                              ;   in Loop: Header=BB1_84 Depth=1
	s_cmpk_gt_u32 s53, 0x63
	s_mov_b64 s[4:5], -1
	s_cbranch_scc0 .LBB1_235
; %bb.219:                              ;   in Loop: Header=BB1_84 Depth=1
	s_cmpk_gt_u32 s53, 0x68
	s_cbranch_scc0 .LBB1_225
; %bb.220:                              ;   in Loop: Header=BB1_84 Depth=1
	s_cmpk_gt_u32 s53, 0x6b
	s_cbranch_scc0 .LBB1_222
; %bb.221:                              ;   in Loop: Header=BB1_84 Depth=1
	s_add_u32 s8, s36, 0x1000
	s_addc_u32 s9, s37, 0
	s_mov_b64 s[4:5], s[38:39]
	s_mov_b64 s[10:11], s[34:35]
	s_mov_b32 s12, s45
	s_mov_b32 s13, s44
	;; [unrolled: 1-line block ×3, first 2 shown]
	v_mov_b32_e32 v31, v40
	s_getpc_b64 s[6:7]
	s_add_u32 s6, s6, _Z50ncclDevFunc_AllReduce_RING_SIMPLE_Sum_f8e5m2_0_0_2v@rel32@lo+4
	s_addc_u32 s7, s7, _Z50ncclDevFunc_AllReduce_RING_SIMPLE_Sum_f8e5m2_0_0_2v@rel32@hi+12
	s_swappc_b64 s[30:31], s[6:7]
	s_mov_b64 s[4:5], 0
.LBB1_222:                              ;   in Loop: Header=BB1_84 Depth=1
	s_andn2_b64 vcc, exec, s[4:5]
	s_cbranch_vccnz .LBB1_224
; %bb.223:                              ;   in Loop: Header=BB1_84 Depth=1
	s_add_u32 s8, s36, 0x1000
	s_addc_u32 s9, s37, 0
	s_mov_b64 s[4:5], s[38:39]
	s_mov_b64 s[10:11], s[34:35]
	s_mov_b32 s12, s45
	s_mov_b32 s13, s44
	;; [unrolled: 1-line block ×3, first 2 shown]
	v_mov_b32_e32 v31, v40
	s_getpc_b64 s[6:7]
	s_add_u32 s6, s6, _Z50ncclDevFunc_AllReduce_RING_SIMPLE_Sum_f8e4m3_0_0_2v@rel32@lo+4
	s_addc_u32 s7, s7, _Z50ncclDevFunc_AllReduce_RING_SIMPLE_Sum_f8e4m3_0_0_2v@rel32@hi+12
	s_swappc_b64 s[30:31], s[6:7]
.LBB1_224:                              ;   in Loop: Header=BB1_84 Depth=1
	s_mov_b64 s[4:5], 0
.LBB1_225:                              ;   in Loop: Header=BB1_84 Depth=1
	s_andn2_b64 vcc, exec, s[4:5]
	s_cbranch_vccnz .LBB1_234
; %bb.226:                              ;   in Loop: Header=BB1_84 Depth=1
	s_cmpk_gt_u32 s53, 0x65
	s_mov_b64 s[4:5], -1
	s_cbranch_scc0 .LBB1_232
; %bb.227:                              ;   in Loop: Header=BB1_84 Depth=1
	s_cmpk_eq_i32 s53, 0x68
	s_cbranch_scc1 .LBB1_229
; %bb.228:                              ;   in Loop: Header=BB1_84 Depth=1
	s_add_u32 s8, s36, 0x1000
	s_addc_u32 s9, s37, 0
	s_mov_b64 s[4:5], s[38:39]
	s_mov_b64 s[10:11], s[34:35]
	s_mov_b32 s12, s45
	s_mov_b32 s13, s44
	;; [unrolled: 1-line block ×3, first 2 shown]
	v_mov_b32_e32 v31, v40
	s_getpc_b64 s[6:7]
	s_add_u32 s6, s6, _Z48ncclDevFunc_AllReduce_RING_SIMPLE_Sum_bf16_0_0_2v@rel32@lo+4
	s_addc_u32 s7, s7, _Z48ncclDevFunc_AllReduce_RING_SIMPLE_Sum_bf16_0_0_2v@rel32@hi+12
	s_swappc_b64 s[30:31], s[6:7]
	s_mov_b64 s[4:5], 0
.LBB1_229:                              ;   in Loop: Header=BB1_84 Depth=1
	s_andn2_b64 vcc, exec, s[4:5]
	s_cbranch_vccnz .LBB1_231
; %bb.230:                              ;   in Loop: Header=BB1_84 Depth=1
	s_add_u32 s8, s36, 0x1000
	s_addc_u32 s9, s37, 0
	s_mov_b64 s[4:5], s[38:39]
	s_mov_b64 s[10:11], s[34:35]
	s_mov_b32 s12, s45
	s_mov_b32 s13, s44
	;; [unrolled: 1-line block ×3, first 2 shown]
	v_mov_b32_e32 v31, v40
	s_getpc_b64 s[6:7]
	s_add_u32 s6, s6, _Z48ncclDevFunc_AllReduce_RING_SIMPLE_Sum_bf16_0_1_2v@rel32@lo+4
	s_addc_u32 s7, s7, _Z48ncclDevFunc_AllReduce_RING_SIMPLE_Sum_bf16_0_1_2v@rel32@hi+12
	s_swappc_b64 s[30:31], s[6:7]
.LBB1_231:                              ;   in Loop: Header=BB1_84 Depth=1
	s_mov_b64 s[4:5], 0
.LBB1_232:                              ;   in Loop: Header=BB1_84 Depth=1
	s_andn2_b64 vcc, exec, s[4:5]
	s_cbranch_vccnz .LBB1_234
; %bb.233:                              ;   in Loop: Header=BB1_84 Depth=1
	s_add_u32 s8, s36, 0x1000
	s_addc_u32 s9, s37, 0
	s_mov_b64 s[4:5], s[38:39]
	s_mov_b64 s[10:11], s[34:35]
	s_mov_b32 s12, s45
	s_mov_b32 s13, s44
	;; [unrolled: 1-line block ×3, first 2 shown]
	v_mov_b32_e32 v31, v40
	s_getpc_b64 s[6:7]
	s_add_u32 s6, s6, _Z47ncclDevFunc_AllReduce_RING_SIMPLE_Sum_f64_0_0_2v@rel32@lo+4
	s_addc_u32 s7, s7, _Z47ncclDevFunc_AllReduce_RING_SIMPLE_Sum_f64_0_0_2v@rel32@hi+12
	s_swappc_b64 s[30:31], s[6:7]
.LBB1_234:                              ;   in Loop: Header=BB1_84 Depth=1
	s_mov_b64 s[4:5], 0
.LBB1_235:                              ;   in Loop: Header=BB1_84 Depth=1
	s_andn2_b64 vcc, exec, s[4:5]
	s_cbranch_vccnz .LBB1_258
; %bb.236:                              ;   in Loop: Header=BB1_84 Depth=1
	s_cmpk_gt_u32 s53, 0x5d
	s_mov_b64 s[4:5], -1
	s_cbranch_scc0 .LBB1_246
; %bb.237:                              ;   in Loop: Header=BB1_84 Depth=1
	s_cmpk_gt_u32 s53, 0x60
	s_cbranch_scc0 .LBB1_243
; %bb.238:                              ;   in Loop: Header=BB1_84 Depth=1
	s_cmpk_lg_i32 s53, 0x61
	s_cbranch_scc0 .LBB1_240
; %bb.239:                              ;   in Loop: Header=BB1_84 Depth=1
	s_add_u32 s8, s36, 0x1000
	s_addc_u32 s9, s37, 0
	s_mov_b64 s[4:5], s[38:39]
	s_mov_b64 s[10:11], s[34:35]
	s_mov_b32 s12, s45
	s_mov_b32 s13, s44
	;; [unrolled: 1-line block ×3, first 2 shown]
	v_mov_b32_e32 v31, v40
	s_getpc_b64 s[6:7]
	s_add_u32 s6, s6, _Z47ncclDevFunc_AllReduce_RING_SIMPLE_Sum_f32_0_0_2v@rel32@lo+4
	s_addc_u32 s7, s7, _Z47ncclDevFunc_AllReduce_RING_SIMPLE_Sum_f32_0_0_2v@rel32@hi+12
	s_swappc_b64 s[30:31], s[6:7]
	s_mov_b64 s[4:5], 0
.LBB1_240:                              ;   in Loop: Header=BB1_84 Depth=1
	s_andn2_b64 vcc, exec, s[4:5]
	s_cbranch_vccnz .LBB1_242
; %bb.241:                              ;   in Loop: Header=BB1_84 Depth=1
	s_add_u32 s8, s36, 0x1000
	s_addc_u32 s9, s37, 0
	s_mov_b64 s[4:5], s[38:39]
	s_mov_b64 s[10:11], s[34:35]
	s_mov_b32 s12, s45
	s_mov_b32 s13, s44
	;; [unrolled: 1-line block ×3, first 2 shown]
	v_mov_b32_e32 v31, v40
	s_getpc_b64 s[6:7]
	s_add_u32 s6, s6, _Z47ncclDevFunc_AllReduce_RING_SIMPLE_Sum_f16_0_0_2v@rel32@lo+4
	s_addc_u32 s7, s7, _Z47ncclDevFunc_AllReduce_RING_SIMPLE_Sum_f16_0_0_2v@rel32@hi+12
	s_swappc_b64 s[30:31], s[6:7]
.LBB1_242:                              ;   in Loop: Header=BB1_84 Depth=1
	s_mov_b64 s[4:5], 0
.LBB1_243:                              ;   in Loop: Header=BB1_84 Depth=1
	s_andn2_b64 vcc, exec, s[4:5]
	s_cbranch_vccnz .LBB1_245
; %bb.244:                              ;   in Loop: Header=BB1_84 Depth=1
	s_add_u32 s8, s36, 0x1000
	s_addc_u32 s9, s37, 0
	s_mov_b64 s[4:5], s[38:39]
	s_mov_b64 s[10:11], s[34:35]
	s_mov_b32 s12, s45
	s_mov_b32 s13, s44
	;; [unrolled: 1-line block ×3, first 2 shown]
	v_mov_b32_e32 v31, v40
	s_getpc_b64 s[6:7]
	s_add_u32 s6, s6, _Z47ncclDevFunc_AllReduce_RING_SIMPLE_Sum_u64_0_0_2v@rel32@lo+4
	s_addc_u32 s7, s7, _Z47ncclDevFunc_AllReduce_RING_SIMPLE_Sum_u64_0_0_2v@rel32@hi+12
	s_swappc_b64 s[30:31], s[6:7]
.LBB1_245:                              ;   in Loop: Header=BB1_84 Depth=1
	s_mov_b64 s[4:5], 0
.LBB1_246:                              ;   in Loop: Header=BB1_84 Depth=1
	s_andn2_b64 vcc, exec, s[4:5]
	s_cbranch_vccnz .LBB1_258
; %bb.247:                              ;   in Loop: Header=BB1_84 Depth=1
	s_cmpk_gt_u32 s53, 0x5a
	s_mov_b64 s[4:5], -1
	s_cbranch_scc0 .LBB1_253
; %bb.248:                              ;   in Loop: Header=BB1_84 Depth=1
	s_cmpk_lg_i32 s53, 0x5b
	s_cbranch_scc0 .LBB1_250
; %bb.249:                              ;   in Loop: Header=BB1_84 Depth=1
	s_add_u32 s8, s36, 0x1000
	s_addc_u32 s9, s37, 0
	s_mov_b64 s[4:5], s[38:39]
	s_mov_b64 s[10:11], s[34:35]
	s_mov_b32 s12, s45
	s_mov_b32 s13, s44
	;; [unrolled: 1-line block ×3, first 2 shown]
	v_mov_b32_e32 v31, v40
	s_getpc_b64 s[6:7]
	s_add_u32 s6, s6, _Z47ncclDevFunc_AllReduce_RING_SIMPLE_Sum_u32_0_0_2v@rel32@lo+4
	s_addc_u32 s7, s7, _Z47ncclDevFunc_AllReduce_RING_SIMPLE_Sum_u32_0_0_2v@rel32@hi+12
	s_swappc_b64 s[30:31], s[6:7]
	s_mov_b64 s[4:5], 0
.LBB1_250:                              ;   in Loop: Header=BB1_84 Depth=1
	s_andn2_b64 vcc, exec, s[4:5]
	s_cbranch_vccnz .LBB1_252
; %bb.251:                              ;   in Loop: Header=BB1_84 Depth=1
	s_add_u32 s8, s36, 0x1000
	s_addc_u32 s9, s37, 0
	s_mov_b64 s[4:5], s[38:39]
	s_mov_b64 s[10:11], s[34:35]
	s_mov_b32 s12, s45
	s_mov_b32 s13, s44
	;; [unrolled: 1-line block ×3, first 2 shown]
	v_mov_b32_e32 v31, v40
	s_getpc_b64 s[6:7]
	s_add_u32 s6, s6, _Z46ncclDevFunc_AllReduce_RING_SIMPLE_Sum_u8_0_0_2v@rel32@lo+4
	s_addc_u32 s7, s7, _Z46ncclDevFunc_AllReduce_RING_SIMPLE_Sum_u8_0_0_2v@rel32@hi+12
	s_swappc_b64 s[30:31], s[6:7]
.LBB1_252:                              ;   in Loop: Header=BB1_84 Depth=1
	s_mov_b64 s[4:5], 0
.LBB1_253:                              ;   in Loop: Header=BB1_84 Depth=1
	s_andn2_b64 vcc, exec, s[4:5]
	s_cbranch_vccnz .LBB1_258
; %bb.254:                              ;   in Loop: Header=BB1_84 Depth=1
	s_cmpk_eq_i32 s53, 0x5a
	s_mov_b64 s[4:5], -1
	s_cbranch_scc1 .LBB1_256
; %bb.255:                              ;   in Loop: Header=BB1_84 Depth=1
	s_add_u32 s8, s36, 0x1000
	s_addc_u32 s9, s37, 0
	s_mov_b64 s[4:5], s[38:39]
	s_mov_b64 s[10:11], s[34:35]
	s_mov_b32 s12, s45
	s_mov_b32 s13, s44
	;; [unrolled: 1-line block ×3, first 2 shown]
	v_mov_b32_e32 v31, v40
	s_getpc_b64 s[6:7]
	s_add_u32 s6, s6, _Z54ncclDevFunc_ReduceScatter_RING_LL_SumPostDiv_u32_0_0_2v@rel32@lo+4
	s_addc_u32 s7, s7, _Z54ncclDevFunc_ReduceScatter_RING_LL_SumPostDiv_u32_0_0_2v@rel32@hi+12
	s_swappc_b64 s[30:31], s[6:7]
	s_mov_b64 s[4:5], 0
.LBB1_256:                              ;   in Loop: Header=BB1_84 Depth=1
	s_andn2_b64 vcc, exec, s[4:5]
	s_cbranch_vccnz .LBB1_258
; %bb.257:                              ;   in Loop: Header=BB1_84 Depth=1
	s_add_u32 s8, s36, 0x1000
	s_addc_u32 s9, s37, 0
	s_mov_b64 s[4:5], s[38:39]
	s_mov_b64 s[10:11], s[34:35]
	s_mov_b32 s12, s45
	s_mov_b32 s13, s44
	;; [unrolled: 1-line block ×3, first 2 shown]
	v_mov_b32_e32 v31, v40
	s_getpc_b64 s[6:7]
	s_add_u32 s6, s6, _Z54ncclDevFunc_ReduceScatter_RING_LL_SumPostDiv_u64_0_0_2v@rel32@lo+4
	s_addc_u32 s7, s7, _Z54ncclDevFunc_ReduceScatter_RING_LL_SumPostDiv_u64_0_0_2v@rel32@hi+12
	s_swappc_b64 s[30:31], s[6:7]
.LBB1_258:                              ;   in Loop: Header=BB1_84 Depth=1
	s_mov_b64 s[4:5], 0
.LBB1_259:                              ;   in Loop: Header=BB1_84 Depth=1
	s_andn2_b64 vcc, exec, s[4:5]
	s_cbranch_vccnz .LBB1_570
; %bb.260:                              ;   in Loop: Header=BB1_84 Depth=1
	s_cmp_gt_u32 s53, 43
	s_mov_b64 s[4:5], -1
	s_cbranch_scc0 .LBB1_415
; %bb.261:                              ;   in Loop: Header=BB1_84 Depth=1
	s_cmpk_gt_u32 s53, 0x41
	s_cbranch_scc0 .LBB1_344
; %bb.262:                              ;   in Loop: Header=BB1_84 Depth=1
	s_cmpk_gt_u32 s53, 0x4c
	s_cbranch_scc0 .LBB1_305
; %bb.263:                              ;   in Loop: Header=BB1_84 Depth=1
	s_cmpk_gt_u32 s53, 0x52
	s_cbranch_scc0 .LBB1_284
; %bb.264:                              ;   in Loop: Header=BB1_84 Depth=1
	s_cmpk_gt_u32 s53, 0x55
	s_cbranch_scc0 .LBB1_274
; %bb.265:                              ;   in Loop: Header=BB1_84 Depth=1
	v_cmp_lt_i16_e32 vcc, s53, v58
	s_cbranch_vccnz .LBB1_271
; %bb.266:                              ;   in Loop: Header=BB1_84 Depth=1
	v_cmp_ne_u16_e32 vcc, s53, v58
	s_cbranch_vccz .LBB1_268
; %bb.267:                              ;   in Loop: Header=BB1_84 Depth=1
	s_add_u32 s8, s36, 0x1000
	s_addc_u32 s9, s37, 0
	s_mov_b64 s[4:5], s[38:39]
	s_mov_b64 s[10:11], s[34:35]
	s_mov_b32 s12, s45
	s_mov_b32 s13, s44
	;; [unrolled: 1-line block ×3, first 2 shown]
	v_mov_b32_e32 v31, v40
	s_getpc_b64 s[6:7]
	s_add_u32 s6, s6, _Z53ncclDevFunc_ReduceScatter_RING_LL_SumPostDiv_u8_0_0_2v@rel32@lo+4
	s_addc_u32 s7, s7, _Z53ncclDevFunc_ReduceScatter_RING_LL_SumPostDiv_u8_0_0_2v@rel32@hi+12
	s_swappc_b64 s[30:31], s[6:7]
	s_mov_b64 s[4:5], 0
.LBB1_268:                              ;   in Loop: Header=BB1_84 Depth=1
	s_andn2_b64 vcc, exec, s[4:5]
	s_cbranch_vccnz .LBB1_270
; %bb.269:                              ;   in Loop: Header=BB1_84 Depth=1
	s_add_u32 s8, s36, 0x1000
	s_addc_u32 s9, s37, 0
	s_mov_b64 s[4:5], s[38:39]
	s_mov_b64 s[10:11], s[34:35]
	s_mov_b32 s12, s45
	s_mov_b32 s13, s44
	;; [unrolled: 1-line block ×3, first 2 shown]
	v_mov_b32_e32 v31, v40
	s_getpc_b64 s[6:7]
	s_add_u32 s6, s6, _Z56ncclDevFunc_ReduceScatter_RING_LL_PreMulSum_f8e5m2_0_0_2v@rel32@lo+4
	s_addc_u32 s7, s7, _Z56ncclDevFunc_ReduceScatter_RING_LL_PreMulSum_f8e5m2_0_0_2v@rel32@hi+12
	s_swappc_b64 s[30:31], s[6:7]
.LBB1_270:                              ;   in Loop: Header=BB1_84 Depth=1
	s_mov_b64 s[4:5], 0
.LBB1_271:                              ;   in Loop: Header=BB1_84 Depth=1
	s_andn2_b64 vcc, exec, s[4:5]
	s_cbranch_vccnz .LBB1_273
; %bb.272:                              ;   in Loop: Header=BB1_84 Depth=1
	s_add_u32 s8, s36, 0x1000
	s_addc_u32 s9, s37, 0
	s_mov_b64 s[4:5], s[38:39]
	s_mov_b64 s[10:11], s[34:35]
	s_mov_b32 s12, s45
	s_mov_b32 s13, s44
	s_mov_b32 s14, s33
	v_mov_b32_e32 v31, v40
	s_getpc_b64 s[6:7]
	s_add_u32 s6, s6, _Z56ncclDevFunc_ReduceScatter_RING_LL_PreMulSum_f8e4m3_0_0_2v@rel32@lo+4
	s_addc_u32 s7, s7, _Z56ncclDevFunc_ReduceScatter_RING_LL_PreMulSum_f8e4m3_0_0_2v@rel32@hi+12
	s_swappc_b64 s[30:31], s[6:7]
.LBB1_273:                              ;   in Loop: Header=BB1_84 Depth=1
	s_mov_b64 s[4:5], 0
.LBB1_274:                              ;   in Loop: Header=BB1_84 Depth=1
	s_and_b64 vcc, exec, s[4:5]
	s_cbranch_vccz .LBB1_283
; %bb.275:                              ;   in Loop: Header=BB1_84 Depth=1
	v_cmp_lt_i16_e32 vcc, s53, v59
	s_mov_b64 s[4:5], -1
	s_cbranch_vccnz .LBB1_281
; %bb.276:                              ;   in Loop: Header=BB1_84 Depth=1
	v_cmp_ne_u16_e32 vcc, s53, v59
	s_cbranch_vccz .LBB1_278
; %bb.277:                              ;   in Loop: Header=BB1_84 Depth=1
	s_add_u32 s8, s36, 0x1000
	s_addc_u32 s9, s37, 0
	s_mov_b64 s[4:5], s[38:39]
	s_mov_b64 s[10:11], s[34:35]
	s_mov_b32 s12, s45
	s_mov_b32 s13, s44
	;; [unrolled: 1-line block ×3, first 2 shown]
	v_mov_b32_e32 v31, v40
	s_getpc_b64 s[6:7]
	s_add_u32 s6, s6, _Z54ncclDevFunc_ReduceScatter_RING_LL_PreMulSum_bf16_0_0_2v@rel32@lo+4
	s_addc_u32 s7, s7, _Z54ncclDevFunc_ReduceScatter_RING_LL_PreMulSum_bf16_0_0_2v@rel32@hi+12
	s_swappc_b64 s[30:31], s[6:7]
	s_mov_b64 s[4:5], 0
.LBB1_278:                              ;   in Loop: Header=BB1_84 Depth=1
	s_andn2_b64 vcc, exec, s[4:5]
	s_cbranch_vccnz .LBB1_280
; %bb.279:                              ;   in Loop: Header=BB1_84 Depth=1
	s_add_u32 s8, s36, 0x1000
	s_addc_u32 s9, s37, 0
	s_mov_b64 s[4:5], s[38:39]
	s_mov_b64 s[10:11], s[34:35]
	s_mov_b32 s12, s45
	s_mov_b32 s13, s44
	;; [unrolled: 1-line block ×3, first 2 shown]
	v_mov_b32_e32 v31, v40
	s_getpc_b64 s[6:7]
	s_add_u32 s6, s6, _Z53ncclDevFunc_ReduceScatter_RING_LL_PreMulSum_f64_0_0_2v@rel32@lo+4
	s_addc_u32 s7, s7, _Z53ncclDevFunc_ReduceScatter_RING_LL_PreMulSum_f64_0_0_2v@rel32@hi+12
	s_swappc_b64 s[30:31], s[6:7]
.LBB1_280:                              ;   in Loop: Header=BB1_84 Depth=1
	s_mov_b64 s[4:5], 0
.LBB1_281:                              ;   in Loop: Header=BB1_84 Depth=1
	s_andn2_b64 vcc, exec, s[4:5]
	s_cbranch_vccnz .LBB1_283
; %bb.282:                              ;   in Loop: Header=BB1_84 Depth=1
	s_add_u32 s8, s36, 0x1000
	s_addc_u32 s9, s37, 0
	s_mov_b64 s[4:5], s[38:39]
	s_mov_b64 s[10:11], s[34:35]
	s_mov_b32 s12, s45
	s_mov_b32 s13, s44
	;; [unrolled: 1-line block ×3, first 2 shown]
	v_mov_b32_e32 v31, v40
	s_getpc_b64 s[6:7]
	s_add_u32 s6, s6, _Z53ncclDevFunc_ReduceScatter_RING_LL_PreMulSum_f32_0_0_2v@rel32@lo+4
	s_addc_u32 s7, s7, _Z53ncclDevFunc_ReduceScatter_RING_LL_PreMulSum_f32_0_0_2v@rel32@hi+12
	s_swappc_b64 s[30:31], s[6:7]
.LBB1_283:                              ;   in Loop: Header=BB1_84 Depth=1
	s_mov_b64 s[4:5], 0
.LBB1_284:                              ;   in Loop: Header=BB1_84 Depth=1
	s_andn2_b64 vcc, exec, s[4:5]
	s_cbranch_vccnz .LBB1_304
; %bb.285:                              ;   in Loop: Header=BB1_84 Depth=1
	s_cmpk_gt_u32 s53, 0x4f
	s_mov_b64 s[4:5], -1
	s_cbranch_scc0 .LBB1_295
; %bb.286:                              ;   in Loop: Header=BB1_84 Depth=1
	v_cmp_lt_i16_e32 vcc, s53, v60
	s_cbranch_vccnz .LBB1_292
; %bb.287:                              ;   in Loop: Header=BB1_84 Depth=1
	v_cmp_ne_u16_e32 vcc, s53, v60
	s_cbranch_vccz .LBB1_289
; %bb.288:                              ;   in Loop: Header=BB1_84 Depth=1
	s_add_u32 s8, s36, 0x1000
	s_addc_u32 s9, s37, 0
	s_mov_b64 s[4:5], s[38:39]
	s_mov_b64 s[10:11], s[34:35]
	s_mov_b32 s12, s45
	s_mov_b32 s13, s44
	s_mov_b32 s14, s33
	v_mov_b32_e32 v31, v40
	s_getpc_b64 s[6:7]
	s_add_u32 s6, s6, _Z53ncclDevFunc_ReduceScatter_RING_LL_PreMulSum_f16_0_0_2v@rel32@lo+4
	s_addc_u32 s7, s7, _Z53ncclDevFunc_ReduceScatter_RING_LL_PreMulSum_f16_0_0_2v@rel32@hi+12
	s_swappc_b64 s[30:31], s[6:7]
	s_mov_b64 s[4:5], 0
.LBB1_289:                              ;   in Loop: Header=BB1_84 Depth=1
	s_andn2_b64 vcc, exec, s[4:5]
	s_cbranch_vccnz .LBB1_291
; %bb.290:                              ;   in Loop: Header=BB1_84 Depth=1
	s_add_u32 s8, s36, 0x1000
	s_addc_u32 s9, s37, 0
	s_mov_b64 s[4:5], s[38:39]
	s_mov_b64 s[10:11], s[34:35]
	s_mov_b32 s12, s45
	s_mov_b32 s13, s44
	;; [unrolled: 1-line block ×3, first 2 shown]
	v_mov_b32_e32 v31, v40
	s_getpc_b64 s[6:7]
	s_add_u32 s6, s6, _Z53ncclDevFunc_ReduceScatter_RING_LL_PreMulSum_u64_0_0_2v@rel32@lo+4
	s_addc_u32 s7, s7, _Z53ncclDevFunc_ReduceScatter_RING_LL_PreMulSum_u64_0_0_2v@rel32@hi+12
	s_swappc_b64 s[30:31], s[6:7]
.LBB1_291:                              ;   in Loop: Header=BB1_84 Depth=1
	s_mov_b64 s[4:5], 0
.LBB1_292:                              ;   in Loop: Header=BB1_84 Depth=1
	s_andn2_b64 vcc, exec, s[4:5]
	s_cbranch_vccnz .LBB1_294
; %bb.293:                              ;   in Loop: Header=BB1_84 Depth=1
	s_add_u32 s8, s36, 0x1000
	s_addc_u32 s9, s37, 0
	s_mov_b64 s[4:5], s[38:39]
	s_mov_b64 s[10:11], s[34:35]
	s_mov_b32 s12, s45
	s_mov_b32 s13, s44
	;; [unrolled: 1-line block ×3, first 2 shown]
	v_mov_b32_e32 v31, v40
	s_getpc_b64 s[6:7]
	s_add_u32 s6, s6, _Z53ncclDevFunc_ReduceScatter_RING_LL_PreMulSum_u32_0_0_2v@rel32@lo+4
	s_addc_u32 s7, s7, _Z53ncclDevFunc_ReduceScatter_RING_LL_PreMulSum_u32_0_0_2v@rel32@hi+12
	s_swappc_b64 s[30:31], s[6:7]
.LBB1_294:                              ;   in Loop: Header=BB1_84 Depth=1
	s_mov_b64 s[4:5], 0
.LBB1_295:                              ;   in Loop: Header=BB1_84 Depth=1
	s_and_b64 vcc, exec, s[4:5]
	s_cbranch_vccz .LBB1_304
; %bb.296:                              ;   in Loop: Header=BB1_84 Depth=1
	v_cmp_lt_i16_e32 vcc, s53, v61
	s_mov_b64 s[4:5], -1
	s_cbranch_vccnz .LBB1_302
; %bb.297:                              ;   in Loop: Header=BB1_84 Depth=1
	v_cmp_ne_u16_e32 vcc, s53, v61
	s_cbranch_vccz .LBB1_299
; %bb.298:                              ;   in Loop: Header=BB1_84 Depth=1
	s_add_u32 s8, s36, 0x1000
	s_addc_u32 s9, s37, 0
	s_mov_b64 s[4:5], s[38:39]
	s_mov_b64 s[10:11], s[34:35]
	s_mov_b32 s12, s45
	s_mov_b32 s13, s44
	;; [unrolled: 1-line block ×3, first 2 shown]
	v_mov_b32_e32 v31, v40
	s_getpc_b64 s[6:7]
	s_add_u32 s6, s6, _Z52ncclDevFunc_ReduceScatter_RING_LL_PreMulSum_u8_0_0_2v@rel32@lo+4
	s_addc_u32 s7, s7, _Z52ncclDevFunc_ReduceScatter_RING_LL_PreMulSum_u8_0_0_2v@rel32@hi+12
	s_swappc_b64 s[30:31], s[6:7]
	s_mov_b64 s[4:5], 0
.LBB1_299:                              ;   in Loop: Header=BB1_84 Depth=1
	s_andn2_b64 vcc, exec, s[4:5]
	s_cbranch_vccnz .LBB1_301
; %bb.300:                              ;   in Loop: Header=BB1_84 Depth=1
	s_add_u32 s8, s36, 0x1000
	s_addc_u32 s9, s37, 0
	s_mov_b64 s[4:5], s[38:39]
	s_mov_b64 s[10:11], s[34:35]
	s_mov_b32 s12, s45
	s_mov_b32 s13, s44
	;; [unrolled: 1-line block ×3, first 2 shown]
	v_mov_b32_e32 v31, v40
	s_getpc_b64 s[6:7]
	s_add_u32 s6, s6, _Z53ncclDevFunc_ReduceScatter_RING_LL_MinMax_f8e5m2_0_0_2v@rel32@lo+4
	s_addc_u32 s7, s7, _Z53ncclDevFunc_ReduceScatter_RING_LL_MinMax_f8e5m2_0_0_2v@rel32@hi+12
	s_swappc_b64 s[30:31], s[6:7]
.LBB1_301:                              ;   in Loop: Header=BB1_84 Depth=1
	s_mov_b64 s[4:5], 0
.LBB1_302:                              ;   in Loop: Header=BB1_84 Depth=1
	s_andn2_b64 vcc, exec, s[4:5]
	s_cbranch_vccnz .LBB1_304
; %bb.303:                              ;   in Loop: Header=BB1_84 Depth=1
	s_add_u32 s8, s36, 0x1000
	s_addc_u32 s9, s37, 0
	s_mov_b64 s[4:5], s[38:39]
	s_mov_b64 s[10:11], s[34:35]
	s_mov_b32 s12, s45
	s_mov_b32 s13, s44
	;; [unrolled: 1-line block ×3, first 2 shown]
	v_mov_b32_e32 v31, v40
	s_getpc_b64 s[6:7]
	s_add_u32 s6, s6, _Z53ncclDevFunc_ReduceScatter_RING_LL_MinMax_f8e4m3_0_0_2v@rel32@lo+4
	s_addc_u32 s7, s7, _Z53ncclDevFunc_ReduceScatter_RING_LL_MinMax_f8e4m3_0_0_2v@rel32@hi+12
	s_swappc_b64 s[30:31], s[6:7]
.LBB1_304:                              ;   in Loop: Header=BB1_84 Depth=1
	s_mov_b64 s[4:5], 0
.LBB1_305:                              ;   in Loop: Header=BB1_84 Depth=1
	s_andn2_b64 vcc, exec, s[4:5]
	s_cbranch_vccnz .LBB1_343
; %bb.306:                              ;   in Loop: Header=BB1_84 Depth=1
	s_cmpk_gt_u32 s53, 0x46
	s_mov_b64 s[4:5], -1
	s_cbranch_scc0 .LBB1_327
; %bb.307:                              ;   in Loop: Header=BB1_84 Depth=1
	s_cmpk_gt_u32 s53, 0x49
	s_cbranch_scc0 .LBB1_317
; %bb.308:                              ;   in Loop: Header=BB1_84 Depth=1
	v_cmp_lt_i16_e32 vcc, s53, v62
	s_cbranch_vccnz .LBB1_314
; %bb.309:                              ;   in Loop: Header=BB1_84 Depth=1
	v_cmp_ne_u16_e32 vcc, s53, v62
	s_cbranch_vccz .LBB1_311
; %bb.310:                              ;   in Loop: Header=BB1_84 Depth=1
	s_add_u32 s8, s36, 0x1000
	s_addc_u32 s9, s37, 0
	s_mov_b64 s[4:5], s[38:39]
	s_mov_b64 s[10:11], s[34:35]
	s_mov_b32 s12, s45
	s_mov_b32 s13, s44
	;; [unrolled: 1-line block ×3, first 2 shown]
	v_mov_b32_e32 v31, v40
	s_getpc_b64 s[6:7]
	s_add_u32 s6, s6, _Z51ncclDevFunc_ReduceScatter_RING_LL_MinMax_bf16_0_0_2v@rel32@lo+4
	s_addc_u32 s7, s7, _Z51ncclDevFunc_ReduceScatter_RING_LL_MinMax_bf16_0_0_2v@rel32@hi+12
	s_swappc_b64 s[30:31], s[6:7]
	s_mov_b64 s[4:5], 0
.LBB1_311:                              ;   in Loop: Header=BB1_84 Depth=1
	s_andn2_b64 vcc, exec, s[4:5]
	s_cbranch_vccnz .LBB1_313
; %bb.312:                              ;   in Loop: Header=BB1_84 Depth=1
	s_add_u32 s8, s36, 0x1000
	s_addc_u32 s9, s37, 0
	s_mov_b64 s[4:5], s[38:39]
	s_mov_b64 s[10:11], s[34:35]
	s_mov_b32 s12, s45
	s_mov_b32 s13, s44
	;; [unrolled: 1-line block ×3, first 2 shown]
	v_mov_b32_e32 v31, v40
	s_getpc_b64 s[6:7]
	s_add_u32 s6, s6, _Z50ncclDevFunc_ReduceScatter_RING_LL_MinMax_f64_0_0_2v@rel32@lo+4
	s_addc_u32 s7, s7, _Z50ncclDevFunc_ReduceScatter_RING_LL_MinMax_f64_0_0_2v@rel32@hi+12
	s_swappc_b64 s[30:31], s[6:7]
.LBB1_313:                              ;   in Loop: Header=BB1_84 Depth=1
	s_mov_b64 s[4:5], 0
.LBB1_314:                              ;   in Loop: Header=BB1_84 Depth=1
	s_andn2_b64 vcc, exec, s[4:5]
	s_cbranch_vccnz .LBB1_316
; %bb.315:                              ;   in Loop: Header=BB1_84 Depth=1
	s_add_u32 s8, s36, 0x1000
	s_addc_u32 s9, s37, 0
	s_mov_b64 s[4:5], s[38:39]
	s_mov_b64 s[10:11], s[34:35]
	s_mov_b32 s12, s45
	s_mov_b32 s13, s44
	s_mov_b32 s14, s33
	v_mov_b32_e32 v31, v40
	s_getpc_b64 s[6:7]
	s_add_u32 s6, s6, _Z50ncclDevFunc_ReduceScatter_RING_LL_MinMax_f32_0_0_2v@rel32@lo+4
	s_addc_u32 s7, s7, _Z50ncclDevFunc_ReduceScatter_RING_LL_MinMax_f32_0_0_2v@rel32@hi+12
	s_swappc_b64 s[30:31], s[6:7]
.LBB1_316:                              ;   in Loop: Header=BB1_84 Depth=1
	s_mov_b64 s[4:5], 0
.LBB1_317:                              ;   in Loop: Header=BB1_84 Depth=1
	s_and_b64 vcc, exec, s[4:5]
	s_cbranch_vccz .LBB1_326
; %bb.318:                              ;   in Loop: Header=BB1_84 Depth=1
	v_cmp_lt_i16_e32 vcc, s53, v63
	s_mov_b64 s[4:5], -1
	s_cbranch_vccnz .LBB1_324
; %bb.319:                              ;   in Loop: Header=BB1_84 Depth=1
	v_cmp_ne_u16_e32 vcc, s53, v63
	s_cbranch_vccz .LBB1_321
; %bb.320:                              ;   in Loop: Header=BB1_84 Depth=1
	s_add_u32 s8, s36, 0x1000
	s_addc_u32 s9, s37, 0
	s_mov_b64 s[4:5], s[38:39]
	s_mov_b64 s[10:11], s[34:35]
	s_mov_b32 s12, s45
	s_mov_b32 s13, s44
	;; [unrolled: 1-line block ×3, first 2 shown]
	v_mov_b32_e32 v31, v40
	s_getpc_b64 s[6:7]
	s_add_u32 s6, s6, _Z50ncclDevFunc_ReduceScatter_RING_LL_MinMax_f16_0_0_2v@rel32@lo+4
	s_addc_u32 s7, s7, _Z50ncclDevFunc_ReduceScatter_RING_LL_MinMax_f16_0_0_2v@rel32@hi+12
	s_swappc_b64 s[30:31], s[6:7]
	s_mov_b64 s[4:5], 0
.LBB1_321:                              ;   in Loop: Header=BB1_84 Depth=1
	s_andn2_b64 vcc, exec, s[4:5]
	s_cbranch_vccnz .LBB1_323
; %bb.322:                              ;   in Loop: Header=BB1_84 Depth=1
	s_add_u32 s8, s36, 0x1000
	s_addc_u32 s9, s37, 0
	s_mov_b64 s[4:5], s[38:39]
	s_mov_b64 s[10:11], s[34:35]
	s_mov_b32 s12, s45
	s_mov_b32 s13, s44
	;; [unrolled: 1-line block ×3, first 2 shown]
	v_mov_b32_e32 v31, v40
	s_getpc_b64 s[6:7]
	s_add_u32 s6, s6, _Z50ncclDevFunc_ReduceScatter_RING_LL_MinMax_u64_0_0_2v@rel32@lo+4
	s_addc_u32 s7, s7, _Z50ncclDevFunc_ReduceScatter_RING_LL_MinMax_u64_0_0_2v@rel32@hi+12
	s_swappc_b64 s[30:31], s[6:7]
.LBB1_323:                              ;   in Loop: Header=BB1_84 Depth=1
	s_mov_b64 s[4:5], 0
.LBB1_324:                              ;   in Loop: Header=BB1_84 Depth=1
	s_andn2_b64 vcc, exec, s[4:5]
	s_cbranch_vccnz .LBB1_326
; %bb.325:                              ;   in Loop: Header=BB1_84 Depth=1
	s_add_u32 s8, s36, 0x1000
	s_addc_u32 s9, s37, 0
	s_mov_b64 s[4:5], s[38:39]
	s_mov_b64 s[10:11], s[34:35]
	s_mov_b32 s12, s45
	s_mov_b32 s13, s44
	;; [unrolled: 1-line block ×3, first 2 shown]
	v_mov_b32_e32 v31, v40
	s_getpc_b64 s[6:7]
	s_add_u32 s6, s6, _Z50ncclDevFunc_ReduceScatter_RING_LL_MinMax_u32_0_0_2v@rel32@lo+4
	s_addc_u32 s7, s7, _Z50ncclDevFunc_ReduceScatter_RING_LL_MinMax_u32_0_0_2v@rel32@hi+12
	s_swappc_b64 s[30:31], s[6:7]
.LBB1_326:                              ;   in Loop: Header=BB1_84 Depth=1
	s_mov_b64 s[4:5], 0
.LBB1_327:                              ;   in Loop: Header=BB1_84 Depth=1
	s_andn2_b64 vcc, exec, s[4:5]
	s_cbranch_vccnz .LBB1_343
; %bb.328:                              ;   in Loop: Header=BB1_84 Depth=1
	s_cmpk_gt_u32 s53, 0x43
	s_mov_b64 s[4:5], -1
	s_cbranch_scc0 .LBB1_338
; %bb.329:                              ;   in Loop: Header=BB1_84 Depth=1
	v_cmp_lt_i16_e32 vcc, s53, v72
	s_cbranch_vccnz .LBB1_335
; %bb.330:                              ;   in Loop: Header=BB1_84 Depth=1
	v_cmp_ne_u16_e32 vcc, s53, v72
	s_cbranch_vccz .LBB1_332
; %bb.331:                              ;   in Loop: Header=BB1_84 Depth=1
	s_add_u32 s8, s36, 0x1000
	s_addc_u32 s9, s37, 0
	s_mov_b64 s[4:5], s[38:39]
	s_mov_b64 s[10:11], s[34:35]
	s_mov_b32 s12, s45
	s_mov_b32 s13, s44
	;; [unrolled: 1-line block ×3, first 2 shown]
	v_mov_b32_e32 v31, v40
	s_getpc_b64 s[6:7]
	s_add_u32 s6, s6, _Z49ncclDevFunc_ReduceScatter_RING_LL_MinMax_u8_0_0_2v@rel32@lo+4
	s_addc_u32 s7, s7, _Z49ncclDevFunc_ReduceScatter_RING_LL_MinMax_u8_0_0_2v@rel32@hi+12
	s_swappc_b64 s[30:31], s[6:7]
	s_mov_b64 s[4:5], 0
.LBB1_332:                              ;   in Loop: Header=BB1_84 Depth=1
	s_andn2_b64 vcc, exec, s[4:5]
	s_cbranch_vccnz .LBB1_334
; %bb.333:                              ;   in Loop: Header=BB1_84 Depth=1
	s_add_u32 s8, s36, 0x1000
	s_addc_u32 s9, s37, 0
	s_mov_b64 s[4:5], s[38:39]
	s_mov_b64 s[10:11], s[34:35]
	s_mov_b32 s12, s45
	s_mov_b32 s13, s44
	;; [unrolled: 1-line block ×3, first 2 shown]
	v_mov_b32_e32 v31, v40
	s_getpc_b64 s[6:7]
	s_add_u32 s6, s6, _Z51ncclDevFunc_ReduceScatter_RING_LL_Prod_f8e5m2_0_0_2v@rel32@lo+4
	s_addc_u32 s7, s7, _Z51ncclDevFunc_ReduceScatter_RING_LL_Prod_f8e5m2_0_0_2v@rel32@hi+12
	s_swappc_b64 s[30:31], s[6:7]
.LBB1_334:                              ;   in Loop: Header=BB1_84 Depth=1
	s_mov_b64 s[4:5], 0
.LBB1_335:                              ;   in Loop: Header=BB1_84 Depth=1
	s_andn2_b64 vcc, exec, s[4:5]
	s_cbranch_vccnz .LBB1_337
; %bb.336:                              ;   in Loop: Header=BB1_84 Depth=1
	s_add_u32 s8, s36, 0x1000
	s_addc_u32 s9, s37, 0
	s_mov_b64 s[4:5], s[38:39]
	s_mov_b64 s[10:11], s[34:35]
	s_mov_b32 s12, s45
	s_mov_b32 s13, s44
	;; [unrolled: 1-line block ×3, first 2 shown]
	v_mov_b32_e32 v31, v40
	s_getpc_b64 s[6:7]
	s_add_u32 s6, s6, _Z51ncclDevFunc_ReduceScatter_RING_LL_Prod_f8e4m3_0_0_2v@rel32@lo+4
	s_addc_u32 s7, s7, _Z51ncclDevFunc_ReduceScatter_RING_LL_Prod_f8e4m3_0_0_2v@rel32@hi+12
	s_swappc_b64 s[30:31], s[6:7]
.LBB1_337:                              ;   in Loop: Header=BB1_84 Depth=1
	s_mov_b64 s[4:5], 0
.LBB1_338:                              ;   in Loop: Header=BB1_84 Depth=1
	s_and_b64 vcc, exec, s[4:5]
	s_cbranch_vccz .LBB1_343
; %bb.339:                              ;   in Loop: Header=BB1_84 Depth=1
	s_cmpk_eq_i32 s53, 0x43
	s_mov_b64 s[4:5], -1
	s_cbranch_scc1 .LBB1_341
; %bb.340:                              ;   in Loop: Header=BB1_84 Depth=1
	s_add_u32 s8, s36, 0x1000
	s_addc_u32 s9, s37, 0
	s_mov_b64 s[4:5], s[38:39]
	s_mov_b64 s[10:11], s[34:35]
	s_mov_b32 s12, s45
	s_mov_b32 s13, s44
	;; [unrolled: 1-line block ×3, first 2 shown]
	v_mov_b32_e32 v31, v40
	s_getpc_b64 s[6:7]
	s_add_u32 s6, s6, _Z48ncclDevFunc_ReduceScatter_RING_LL_Prod_f64_0_0_2v@rel32@lo+4
	s_addc_u32 s7, s7, _Z48ncclDevFunc_ReduceScatter_RING_LL_Prod_f64_0_0_2v@rel32@hi+12
	s_swappc_b64 s[30:31], s[6:7]
	s_mov_b64 s[4:5], 0
.LBB1_341:                              ;   in Loop: Header=BB1_84 Depth=1
	s_andn2_b64 vcc, exec, s[4:5]
	s_cbranch_vccnz .LBB1_343
; %bb.342:                              ;   in Loop: Header=BB1_84 Depth=1
	s_add_u32 s8, s36, 0x1000
	s_addc_u32 s9, s37, 0
	s_mov_b64 s[4:5], s[38:39]
	s_mov_b64 s[10:11], s[34:35]
	s_mov_b32 s12, s45
	s_mov_b32 s13, s44
	s_mov_b32 s14, s33
	v_mov_b32_e32 v31, v40
	s_getpc_b64 s[6:7]
	s_add_u32 s6, s6, _Z49ncclDevFunc_ReduceScatter_RING_LL_Prod_bf16_0_0_2v@rel32@lo+4
	s_addc_u32 s7, s7, _Z49ncclDevFunc_ReduceScatter_RING_LL_Prod_bf16_0_0_2v@rel32@hi+12
	s_swappc_b64 s[30:31], s[6:7]
.LBB1_343:                              ;   in Loop: Header=BB1_84 Depth=1
	s_mov_b64 s[4:5], 0
.LBB1_344:                              ;   in Loop: Header=BB1_84 Depth=1
	s_andn2_b64 vcc, exec, s[4:5]
	s_cbranch_vccnz .LBB1_414
; %bb.345:                              ;   in Loop: Header=BB1_84 Depth=1
	s_cmp_gt_u32 s53, 54
	s_mov_b64 s[4:5], -1
	s_cbranch_scc0 .LBB1_384
; %bb.346:                              ;   in Loop: Header=BB1_84 Depth=1
	s_cmp_gt_u32 s53, 59
	s_cbranch_scc0 .LBB1_367
; %bb.347:                              ;   in Loop: Header=BB1_84 Depth=1
	s_cmp_gt_u32 s53, 62
	s_cbranch_scc0 .LBB1_357
; %bb.348:                              ;   in Loop: Header=BB1_84 Depth=1
	v_cmp_lt_i16_e64 s[6:7], s53, 64
	s_and_b64 vcc, exec, s[6:7]
	s_cbranch_vccnz .LBB1_354
; %bb.349:                              ;   in Loop: Header=BB1_84 Depth=1
	v_cmp_ne_u16_e64 s[6:7], s53, 64
	s_and_b64 vcc, exec, s[6:7]
	s_cbranch_vccz .LBB1_351
; %bb.350:                              ;   in Loop: Header=BB1_84 Depth=1
	s_add_u32 s8, s36, 0x1000
	s_addc_u32 s9, s37, 0
	s_mov_b64 s[4:5], s[38:39]
	s_mov_b64 s[10:11], s[34:35]
	s_mov_b32 s12, s45
	s_mov_b32 s13, s44
	;; [unrolled: 1-line block ×3, first 2 shown]
	v_mov_b32_e32 v31, v40
	s_getpc_b64 s[6:7]
	s_add_u32 s6, s6, _Z48ncclDevFunc_ReduceScatter_RING_LL_Prod_f32_0_0_2v@rel32@lo+4
	s_addc_u32 s7, s7, _Z48ncclDevFunc_ReduceScatter_RING_LL_Prod_f32_0_0_2v@rel32@hi+12
	s_swappc_b64 s[30:31], s[6:7]
	s_mov_b64 s[4:5], 0
.LBB1_351:                              ;   in Loop: Header=BB1_84 Depth=1
	s_andn2_b64 vcc, exec, s[4:5]
	s_cbranch_vccnz .LBB1_353
; %bb.352:                              ;   in Loop: Header=BB1_84 Depth=1
	s_add_u32 s8, s36, 0x1000
	s_addc_u32 s9, s37, 0
	s_mov_b64 s[4:5], s[38:39]
	s_mov_b64 s[10:11], s[34:35]
	s_mov_b32 s12, s45
	s_mov_b32 s13, s44
	;; [unrolled: 1-line block ×3, first 2 shown]
	v_mov_b32_e32 v31, v40
	s_getpc_b64 s[6:7]
	s_add_u32 s6, s6, _Z48ncclDevFunc_ReduceScatter_RING_LL_Prod_f16_0_0_2v@rel32@lo+4
	s_addc_u32 s7, s7, _Z48ncclDevFunc_ReduceScatter_RING_LL_Prod_f16_0_0_2v@rel32@hi+12
	s_swappc_b64 s[30:31], s[6:7]
.LBB1_353:                              ;   in Loop: Header=BB1_84 Depth=1
	s_mov_b64 s[4:5], 0
.LBB1_354:                              ;   in Loop: Header=BB1_84 Depth=1
	s_andn2_b64 vcc, exec, s[4:5]
	s_cbranch_vccnz .LBB1_356
; %bb.355:                              ;   in Loop: Header=BB1_84 Depth=1
	s_add_u32 s8, s36, 0x1000
	s_addc_u32 s9, s37, 0
	s_mov_b64 s[4:5], s[38:39]
	s_mov_b64 s[10:11], s[34:35]
	s_mov_b32 s12, s45
	s_mov_b32 s13, s44
	;; [unrolled: 1-line block ×3, first 2 shown]
	v_mov_b32_e32 v31, v40
	s_getpc_b64 s[6:7]
	s_add_u32 s6, s6, _Z48ncclDevFunc_ReduceScatter_RING_LL_Prod_u64_0_0_2v@rel32@lo+4
	s_addc_u32 s7, s7, _Z48ncclDevFunc_ReduceScatter_RING_LL_Prod_u64_0_0_2v@rel32@hi+12
	s_swappc_b64 s[30:31], s[6:7]
.LBB1_356:                              ;   in Loop: Header=BB1_84 Depth=1
	s_mov_b64 s[4:5], 0
.LBB1_357:                              ;   in Loop: Header=BB1_84 Depth=1
	s_and_b64 vcc, exec, s[4:5]
	s_cbranch_vccz .LBB1_366
; %bb.358:                              ;   in Loop: Header=BB1_84 Depth=1
	v_cmp_lt_i16_e64 s[6:7], s53, 61
	s_mov_b64 s[4:5], -1
	s_and_b64 vcc, exec, s[6:7]
	s_cbranch_vccnz .LBB1_364
; %bb.359:                              ;   in Loop: Header=BB1_84 Depth=1
	v_cmp_ne_u16_e64 s[6:7], s53, 61
	s_and_b64 vcc, exec, s[6:7]
	s_cbranch_vccz .LBB1_361
; %bb.360:                              ;   in Loop: Header=BB1_84 Depth=1
	s_add_u32 s8, s36, 0x1000
	s_addc_u32 s9, s37, 0
	s_mov_b64 s[4:5], s[38:39]
	s_mov_b64 s[10:11], s[34:35]
	s_mov_b32 s12, s45
	s_mov_b32 s13, s44
	;; [unrolled: 1-line block ×3, first 2 shown]
	v_mov_b32_e32 v31, v40
	s_getpc_b64 s[6:7]
	s_add_u32 s6, s6, _Z48ncclDevFunc_ReduceScatter_RING_LL_Prod_u32_0_0_2v@rel32@lo+4
	s_addc_u32 s7, s7, _Z48ncclDevFunc_ReduceScatter_RING_LL_Prod_u32_0_0_2v@rel32@hi+12
	s_swappc_b64 s[30:31], s[6:7]
	s_mov_b64 s[4:5], 0
.LBB1_361:                              ;   in Loop: Header=BB1_84 Depth=1
	s_andn2_b64 vcc, exec, s[4:5]
	s_cbranch_vccnz .LBB1_363
; %bb.362:                              ;   in Loop: Header=BB1_84 Depth=1
	s_add_u32 s8, s36, 0x1000
	s_addc_u32 s9, s37, 0
	s_mov_b64 s[4:5], s[38:39]
	s_mov_b64 s[10:11], s[34:35]
	s_mov_b32 s12, s45
	s_mov_b32 s13, s44
	;; [unrolled: 1-line block ×3, first 2 shown]
	v_mov_b32_e32 v31, v40
	s_getpc_b64 s[6:7]
	s_add_u32 s6, s6, _Z47ncclDevFunc_ReduceScatter_RING_LL_Prod_u8_0_0_2v@rel32@lo+4
	s_addc_u32 s7, s7, _Z47ncclDevFunc_ReduceScatter_RING_LL_Prod_u8_0_0_2v@rel32@hi+12
	s_swappc_b64 s[30:31], s[6:7]
.LBB1_363:                              ;   in Loop: Header=BB1_84 Depth=1
	s_mov_b64 s[4:5], 0
.LBB1_364:                              ;   in Loop: Header=BB1_84 Depth=1
	s_andn2_b64 vcc, exec, s[4:5]
	s_cbranch_vccnz .LBB1_366
; %bb.365:                              ;   in Loop: Header=BB1_84 Depth=1
	s_add_u32 s8, s36, 0x1000
	s_addc_u32 s9, s37, 0
	s_mov_b64 s[4:5], s[38:39]
	s_mov_b64 s[10:11], s[34:35]
	s_mov_b32 s12, s45
	s_mov_b32 s13, s44
	;; [unrolled: 1-line block ×3, first 2 shown]
	v_mov_b32_e32 v31, v40
	s_getpc_b64 s[6:7]
	s_add_u32 s6, s6, _Z50ncclDevFunc_ReduceScatter_RING_LL_Sum_f8e5m2_0_0_2v@rel32@lo+4
	s_addc_u32 s7, s7, _Z50ncclDevFunc_ReduceScatter_RING_LL_Sum_f8e5m2_0_0_2v@rel32@hi+12
	s_swappc_b64 s[30:31], s[6:7]
.LBB1_366:                              ;   in Loop: Header=BB1_84 Depth=1
	s_mov_b64 s[4:5], 0
.LBB1_367:                              ;   in Loop: Header=BB1_84 Depth=1
	s_andn2_b64 vcc, exec, s[4:5]
	s_cbranch_vccnz .LBB1_383
; %bb.368:                              ;   in Loop: Header=BB1_84 Depth=1
	s_cmp_gt_u32 s53, 56
	s_mov_b64 s[4:5], -1
	s_cbranch_scc0 .LBB1_378
; %bb.369:                              ;   in Loop: Header=BB1_84 Depth=1
	v_cmp_lt_i16_e64 s[6:7], s53, 58
	s_and_b64 vcc, exec, s[6:7]
	s_cbranch_vccnz .LBB1_375
; %bb.370:                              ;   in Loop: Header=BB1_84 Depth=1
	v_cmp_ne_u16_e64 s[6:7], s53, 58
	s_and_b64 vcc, exec, s[6:7]
	s_cbranch_vccz .LBB1_372
; %bb.371:                              ;   in Loop: Header=BB1_84 Depth=1
	s_add_u32 s8, s36, 0x1000
	s_addc_u32 s9, s37, 0
	s_mov_b64 s[4:5], s[38:39]
	s_mov_b64 s[10:11], s[34:35]
	s_mov_b32 s12, s45
	s_mov_b32 s13, s44
	;; [unrolled: 1-line block ×3, first 2 shown]
	v_mov_b32_e32 v31, v40
	s_getpc_b64 s[6:7]
	s_add_u32 s6, s6, _Z50ncclDevFunc_ReduceScatter_RING_LL_Sum_f8e4m3_0_0_2v@rel32@lo+4
	s_addc_u32 s7, s7, _Z50ncclDevFunc_ReduceScatter_RING_LL_Sum_f8e4m3_0_0_2v@rel32@hi+12
	s_swappc_b64 s[30:31], s[6:7]
	s_mov_b64 s[4:5], 0
.LBB1_372:                              ;   in Loop: Header=BB1_84 Depth=1
	s_andn2_b64 vcc, exec, s[4:5]
	s_cbranch_vccnz .LBB1_374
; %bb.373:                              ;   in Loop: Header=BB1_84 Depth=1
	s_add_u32 s8, s36, 0x1000
	s_addc_u32 s9, s37, 0
	s_mov_b64 s[4:5], s[38:39]
	s_mov_b64 s[10:11], s[34:35]
	s_mov_b32 s12, s45
	s_mov_b32 s13, s44
	;; [unrolled: 1-line block ×3, first 2 shown]
	v_mov_b32_e32 v31, v40
	s_getpc_b64 s[6:7]
	s_add_u32 s6, s6, _Z48ncclDevFunc_ReduceScatter_RING_LL_Sum_bf16_0_0_2v@rel32@lo+4
	s_addc_u32 s7, s7, _Z48ncclDevFunc_ReduceScatter_RING_LL_Sum_bf16_0_0_2v@rel32@hi+12
	s_swappc_b64 s[30:31], s[6:7]
.LBB1_374:                              ;   in Loop: Header=BB1_84 Depth=1
	s_mov_b64 s[4:5], 0
.LBB1_375:                              ;   in Loop: Header=BB1_84 Depth=1
	s_andn2_b64 vcc, exec, s[4:5]
	s_cbranch_vccnz .LBB1_377
; %bb.376:                              ;   in Loop: Header=BB1_84 Depth=1
	s_add_u32 s8, s36, 0x1000
	s_addc_u32 s9, s37, 0
	s_mov_b64 s[4:5], s[38:39]
	s_mov_b64 s[10:11], s[34:35]
	s_mov_b32 s12, s45
	s_mov_b32 s13, s44
	;; [unrolled: 1-line block ×3, first 2 shown]
	v_mov_b32_e32 v31, v40
	s_getpc_b64 s[6:7]
	s_add_u32 s6, s6, _Z47ncclDevFunc_ReduceScatter_RING_LL_Sum_f64_0_0_2v@rel32@lo+4
	s_addc_u32 s7, s7, _Z47ncclDevFunc_ReduceScatter_RING_LL_Sum_f64_0_0_2v@rel32@hi+12
	s_swappc_b64 s[30:31], s[6:7]
.LBB1_377:                              ;   in Loop: Header=BB1_84 Depth=1
	s_mov_b64 s[4:5], 0
.LBB1_378:                              ;   in Loop: Header=BB1_84 Depth=1
	s_and_b64 vcc, exec, s[4:5]
	s_cbranch_vccz .LBB1_383
; %bb.379:                              ;   in Loop: Header=BB1_84 Depth=1
	s_cmp_eq_u32 s53, 56
	s_mov_b64 s[4:5], -1
	s_cbranch_scc1 .LBB1_381
; %bb.380:                              ;   in Loop: Header=BB1_84 Depth=1
	s_add_u32 s8, s36, 0x1000
	s_addc_u32 s9, s37, 0
	s_mov_b64 s[4:5], s[38:39]
	s_mov_b64 s[10:11], s[34:35]
	s_mov_b32 s12, s45
	s_mov_b32 s13, s44
	;; [unrolled: 1-line block ×3, first 2 shown]
	v_mov_b32_e32 v31, v40
	s_getpc_b64 s[6:7]
	s_add_u32 s6, s6, _Z47ncclDevFunc_ReduceScatter_RING_LL_Sum_f16_0_0_2v@rel32@lo+4
	s_addc_u32 s7, s7, _Z47ncclDevFunc_ReduceScatter_RING_LL_Sum_f16_0_0_2v@rel32@hi+12
	s_swappc_b64 s[30:31], s[6:7]
	s_mov_b64 s[4:5], 0
.LBB1_381:                              ;   in Loop: Header=BB1_84 Depth=1
	s_andn2_b64 vcc, exec, s[4:5]
	s_cbranch_vccnz .LBB1_383
; %bb.382:                              ;   in Loop: Header=BB1_84 Depth=1
	s_add_u32 s8, s36, 0x1000
	s_addc_u32 s9, s37, 0
	s_mov_b64 s[4:5], s[38:39]
	s_mov_b64 s[10:11], s[34:35]
	s_mov_b32 s12, s45
	s_mov_b32 s13, s44
	;; [unrolled: 1-line block ×3, first 2 shown]
	v_mov_b32_e32 v31, v40
	s_getpc_b64 s[6:7]
	s_add_u32 s6, s6, _Z47ncclDevFunc_ReduceScatter_RING_LL_Sum_f32_0_0_2v@rel32@lo+4
	s_addc_u32 s7, s7, _Z47ncclDevFunc_ReduceScatter_RING_LL_Sum_f32_0_0_2v@rel32@hi+12
	s_swappc_b64 s[30:31], s[6:7]
.LBB1_383:                              ;   in Loop: Header=BB1_84 Depth=1
	s_mov_b64 s[4:5], 0
.LBB1_384:                              ;   in Loop: Header=BB1_84 Depth=1
	s_andn2_b64 vcc, exec, s[4:5]
	s_cbranch_vccnz .LBB1_414
; %bb.385:                              ;   in Loop: Header=BB1_84 Depth=1
	s_cmp_gt_u32 s53, 48
	s_mov_b64 s[4:5], -1
	s_cbranch_scc0 .LBB1_402
; %bb.386:                              ;   in Loop: Header=BB1_84 Depth=1
	s_cmp_gt_u32 s53, 51
	s_cbranch_scc0 .LBB1_396
; %bb.387:                              ;   in Loop: Header=BB1_84 Depth=1
	v_cmp_lt_i16_e64 s[6:7], s53, 53
	s_and_b64 vcc, exec, s[6:7]
	s_cbranch_vccnz .LBB1_393
; %bb.388:                              ;   in Loop: Header=BB1_84 Depth=1
	v_cmp_ne_u16_e64 s[6:7], s53, 53
	s_and_b64 vcc, exec, s[6:7]
	s_cbranch_vccz .LBB1_390
; %bb.389:                              ;   in Loop: Header=BB1_84 Depth=1
	s_add_u32 s8, s36, 0x1000
	s_addc_u32 s9, s37, 0
	s_mov_b64 s[4:5], s[38:39]
	s_mov_b64 s[10:11], s[34:35]
	s_mov_b32 s12, s45
	s_mov_b32 s13, s44
	;; [unrolled: 1-line block ×3, first 2 shown]
	v_mov_b32_e32 v31, v40
	s_getpc_b64 s[6:7]
	s_add_u32 s6, s6, _Z47ncclDevFunc_ReduceScatter_RING_LL_Sum_u64_0_0_2v@rel32@lo+4
	s_addc_u32 s7, s7, _Z47ncclDevFunc_ReduceScatter_RING_LL_Sum_u64_0_0_2v@rel32@hi+12
	s_swappc_b64 s[30:31], s[6:7]
	s_mov_b64 s[4:5], 0
.LBB1_390:                              ;   in Loop: Header=BB1_84 Depth=1
	s_andn2_b64 vcc, exec, s[4:5]
	s_cbranch_vccnz .LBB1_392
; %bb.391:                              ;   in Loop: Header=BB1_84 Depth=1
	s_add_u32 s8, s36, 0x1000
	s_addc_u32 s9, s37, 0
	s_mov_b64 s[4:5], s[38:39]
	s_mov_b64 s[10:11], s[34:35]
	s_mov_b32 s12, s45
	s_mov_b32 s13, s44
	;; [unrolled: 1-line block ×3, first 2 shown]
	v_mov_b32_e32 v31, v40
	s_getpc_b64 s[6:7]
	s_add_u32 s6, s6, _Z47ncclDevFunc_ReduceScatter_RING_LL_Sum_u32_0_0_2v@rel32@lo+4
	s_addc_u32 s7, s7, _Z47ncclDevFunc_ReduceScatter_RING_LL_Sum_u32_0_0_2v@rel32@hi+12
	s_swappc_b64 s[30:31], s[6:7]
.LBB1_392:                              ;   in Loop: Header=BB1_84 Depth=1
	s_mov_b64 s[4:5], 0
.LBB1_393:                              ;   in Loop: Header=BB1_84 Depth=1
	s_andn2_b64 vcc, exec, s[4:5]
	s_cbranch_vccnz .LBB1_395
; %bb.394:                              ;   in Loop: Header=BB1_84 Depth=1
	s_add_u32 s8, s36, 0x1000
	s_addc_u32 s9, s37, 0
	s_mov_b64 s[4:5], s[38:39]
	s_mov_b64 s[10:11], s[34:35]
	s_mov_b32 s12, s45
	s_mov_b32 s13, s44
	;; [unrolled: 1-line block ×3, first 2 shown]
	v_mov_b32_e32 v31, v40
	s_getpc_b64 s[6:7]
	s_add_u32 s6, s6, _Z46ncclDevFunc_ReduceScatter_RING_LL_Sum_u8_0_0_2v@rel32@lo+4
	s_addc_u32 s7, s7, _Z46ncclDevFunc_ReduceScatter_RING_LL_Sum_u8_0_0_2v@rel32@hi+12
	s_swappc_b64 s[30:31], s[6:7]
.LBB1_395:                              ;   in Loop: Header=BB1_84 Depth=1
	s_mov_b64 s[4:5], 0
.LBB1_396:                              ;   in Loop: Header=BB1_84 Depth=1
	s_and_b64 vcc, exec, s[4:5]
	s_cbranch_vccz .LBB1_401
; %bb.397:                              ;   in Loop: Header=BB1_84 Depth=1
	s_cmp_lg_u32 s53, 49
	s_mov_b64 s[4:5], -1
	s_cbranch_scc0 .LBB1_399
; %bb.398:                              ;   in Loop: Header=BB1_84 Depth=1
	s_add_u32 s8, s36, 0x1000
	s_addc_u32 s9, s37, 0
	s_mov_b64 s[4:5], s[38:39]
	s_mov_b64 s[10:11], s[34:35]
	s_mov_b32 s12, s45
	s_mov_b32 s13, s44
	;; [unrolled: 1-line block ×3, first 2 shown]
	v_mov_b32_e32 v31, v40
	s_getpc_b64 s[6:7]
	s_add_u32 s6, s6, _Z45ncclDevFunc_AllGather_PAT_SIMPLE_Sum_i8_0_0_2v@rel32@lo+4
	s_addc_u32 s7, s7, _Z45ncclDevFunc_AllGather_PAT_SIMPLE_Sum_i8_0_0_2v@rel32@hi+12
	s_swappc_b64 s[30:31], s[6:7]
	s_mov_b64 s[4:5], 0
.LBB1_399:                              ;   in Loop: Header=BB1_84 Depth=1
	s_andn2_b64 vcc, exec, s[4:5]
	s_cbranch_vccnz .LBB1_401
; %bb.400:                              ;   in Loop: Header=BB1_84 Depth=1
	s_add_u32 s8, s36, 0x1000
	s_addc_u32 s9, s37, 0
	s_mov_b64 s[4:5], s[38:39]
	s_mov_b64 s[10:11], s[34:35]
	s_mov_b32 s12, s45
	s_mov_b32 s13, s44
	;; [unrolled: 1-line block ×3, first 2 shown]
	v_mov_b32_e32 v31, v40
	s_getpc_b64 s[6:7]
	s_add_u32 s6, s6, _Z41ncclDevFunc_AllGather_PAT_LL_Sum_i8_0_0_2v@rel32@lo+4
	s_addc_u32 s7, s7, _Z41ncclDevFunc_AllGather_PAT_LL_Sum_i8_0_0_2v@rel32@hi+12
	s_swappc_b64 s[30:31], s[6:7]
.LBB1_401:                              ;   in Loop: Header=BB1_84 Depth=1
	s_mov_b64 s[4:5], 0
.LBB1_402:                              ;   in Loop: Header=BB1_84 Depth=1
	s_andn2_b64 vcc, exec, s[4:5]
	s_cbranch_vccnz .LBB1_414
; %bb.403:                              ;   in Loop: Header=BB1_84 Depth=1
	s_cmp_gt_u32 s53, 45
	s_mov_b64 s[4:5], -1
	s_cbranch_scc0 .LBB1_409
; %bb.404:                              ;   in Loop: Header=BB1_84 Depth=1
	s_cmp_lg_u32 s53, 46
	s_cbranch_scc0 .LBB1_406
; %bb.405:                              ;   in Loop: Header=BB1_84 Depth=1
	s_add_u32 s8, s36, 0x1000
	s_addc_u32 s9, s37, 0
	s_mov_b64 s[4:5], s[38:39]
	s_mov_b64 s[10:11], s[34:35]
	s_mov_b32 s12, s45
	s_mov_b32 s13, s44
	s_mov_b32 s14, s33
	v_mov_b32_e32 v31, v40
	s_getpc_b64 s[6:7]
	s_add_u32 s6, s6, _Z46ncclDevFunc_AllGather_RING_SIMPLE_Sum_i8_0_0_2v@rel32@lo+4
	s_addc_u32 s7, s7, _Z46ncclDevFunc_AllGather_RING_SIMPLE_Sum_i8_0_0_2v@rel32@hi+12
	s_swappc_b64 s[30:31], s[6:7]
	s_mov_b64 s[4:5], 0
.LBB1_406:                              ;   in Loop: Header=BB1_84 Depth=1
	s_andn2_b64 vcc, exec, s[4:5]
	s_cbranch_vccnz .LBB1_408
; %bb.407:                              ;   in Loop: Header=BB1_84 Depth=1
	s_add_u32 s8, s36, 0x1000
	s_addc_u32 s9, s37, 0
	s_mov_b64 s[4:5], s[38:39]
	s_mov_b64 s[10:11], s[34:35]
	s_mov_b32 s12, s45
	s_mov_b32 s13, s44
	;; [unrolled: 1-line block ×3, first 2 shown]
	v_mov_b32_e32 v31, v40
	s_getpc_b64 s[6:7]
	s_add_u32 s6, s6, _Z42ncclDevFunc_AllGather_RING_LL_Sum_i8_0_0_2v@rel32@lo+4
	s_addc_u32 s7, s7, _Z42ncclDevFunc_AllGather_RING_LL_Sum_i8_0_0_2v@rel32@hi+12
	s_swappc_b64 s[30:31], s[6:7]
.LBB1_408:                              ;   in Loop: Header=BB1_84 Depth=1
	s_mov_b64 s[4:5], 0
.LBB1_409:                              ;   in Loop: Header=BB1_84 Depth=1
	s_andn2_b64 vcc, exec, s[4:5]
	s_cbranch_vccnz .LBB1_414
; %bb.410:                              ;   in Loop: Header=BB1_84 Depth=1
	s_cmp_eq_u32 s53, 45
	s_mov_b64 s[4:5], -1
	s_cbranch_scc1 .LBB1_412
; %bb.411:                              ;   in Loop: Header=BB1_84 Depth=1
	s_add_u32 s8, s36, 0x1000
	s_addc_u32 s9, s37, 0
	s_mov_b64 s[4:5], s[38:39]
	s_mov_b64 s[10:11], s[34:35]
	s_mov_b32 s12, s45
	s_mov_b32 s13, s44
	;; [unrolled: 1-line block ×3, first 2 shown]
	v_mov_b32_e32 v31, v40
	s_getpc_b64 s[6:7]
	s_add_u32 s6, s6, _Z51ncclDevFunc_Reduce_RING_SIMPLE_SumPostDiv_u32_0_0_2v@rel32@lo+4
	s_addc_u32 s7, s7, _Z51ncclDevFunc_Reduce_RING_SIMPLE_SumPostDiv_u32_0_0_2v@rel32@hi+12
	s_swappc_b64 s[30:31], s[6:7]
	s_mov_b64 s[4:5], 0
.LBB1_412:                              ;   in Loop: Header=BB1_84 Depth=1
	s_andn2_b64 vcc, exec, s[4:5]
	s_cbranch_vccnz .LBB1_414
; %bb.413:                              ;   in Loop: Header=BB1_84 Depth=1
	s_add_u32 s8, s36, 0x1000
	s_addc_u32 s9, s37, 0
	s_mov_b64 s[4:5], s[38:39]
	s_mov_b64 s[10:11], s[34:35]
	s_mov_b32 s12, s45
	s_mov_b32 s13, s44
	;; [unrolled: 1-line block ×3, first 2 shown]
	v_mov_b32_e32 v31, v40
	s_getpc_b64 s[6:7]
	s_add_u32 s6, s6, _Z51ncclDevFunc_Reduce_RING_SIMPLE_SumPostDiv_u64_0_0_2v@rel32@lo+4
	s_addc_u32 s7, s7, _Z51ncclDevFunc_Reduce_RING_SIMPLE_SumPostDiv_u64_0_0_2v@rel32@hi+12
	s_swappc_b64 s[30:31], s[6:7]
.LBB1_414:                              ;   in Loop: Header=BB1_84 Depth=1
	s_mov_b64 s[4:5], 0
.LBB1_415:                              ;   in Loop: Header=BB1_84 Depth=1
	s_andn2_b64 vcc, exec, s[4:5]
	s_cbranch_vccnz .LBB1_570
; %bb.416:                              ;   in Loop: Header=BB1_84 Depth=1
	s_cmp_gt_u32 s53, 21
	s_mov_b64 s[4:5], -1
	s_cbranch_scc0 .LBB1_495
; %bb.417:                              ;   in Loop: Header=BB1_84 Depth=1
	s_cmp_gt_u32 s53, 32
	s_cbranch_scc0 .LBB1_456
; %bb.418:                              ;   in Loop: Header=BB1_84 Depth=1
	s_cmp_gt_u32 s53, 37
	s_cbranch_scc0 .LBB1_439
; %bb.419:                              ;   in Loop: Header=BB1_84 Depth=1
	s_cmp_gt_u32 s53, 40
	s_cbranch_scc0 .LBB1_429
; %bb.420:                              ;   in Loop: Header=BB1_84 Depth=1
	v_cmp_lt_i16_e64 s[6:7], s53, 42
	s_and_b64 vcc, exec, s[6:7]
	s_cbranch_vccnz .LBB1_426
; %bb.421:                              ;   in Loop: Header=BB1_84 Depth=1
	v_cmp_ne_u16_e64 s[6:7], s53, 42
	s_and_b64 vcc, exec, s[6:7]
	s_cbranch_vccz .LBB1_423
; %bb.422:                              ;   in Loop: Header=BB1_84 Depth=1
	s_add_u32 s8, s36, 0x1000
	s_addc_u32 s9, s37, 0
	s_mov_b64 s[4:5], s[38:39]
	s_mov_b64 s[10:11], s[34:35]
	s_mov_b32 s12, s45
	s_mov_b32 s13, s44
	;; [unrolled: 1-line block ×3, first 2 shown]
	v_mov_b32_e32 v31, v40
	s_getpc_b64 s[6:7]
	s_add_u32 s6, s6, _Z50ncclDevFunc_Reduce_RING_SIMPLE_SumPostDiv_u8_0_0_2v@rel32@lo+4
	s_addc_u32 s7, s7, _Z50ncclDevFunc_Reduce_RING_SIMPLE_SumPostDiv_u8_0_0_2v@rel32@hi+12
	s_swappc_b64 s[30:31], s[6:7]
	s_mov_b64 s[4:5], 0
.LBB1_423:                              ;   in Loop: Header=BB1_84 Depth=1
	s_andn2_b64 vcc, exec, s[4:5]
	s_cbranch_vccnz .LBB1_425
; %bb.424:                              ;   in Loop: Header=BB1_84 Depth=1
	s_add_u32 s8, s36, 0x1000
	s_addc_u32 s9, s37, 0
	s_mov_b64 s[4:5], s[38:39]
	s_mov_b64 s[10:11], s[34:35]
	s_mov_b32 s12, s45
	s_mov_b32 s13, s44
	;; [unrolled: 1-line block ×3, first 2 shown]
	v_mov_b32_e32 v31, v40
	s_getpc_b64 s[6:7]
	s_add_u32 s6, s6, _Z53ncclDevFunc_Reduce_RING_SIMPLE_PreMulSum_f8e5m2_0_0_2v@rel32@lo+4
	s_addc_u32 s7, s7, _Z53ncclDevFunc_Reduce_RING_SIMPLE_PreMulSum_f8e5m2_0_0_2v@rel32@hi+12
	s_swappc_b64 s[30:31], s[6:7]
.LBB1_425:                              ;   in Loop: Header=BB1_84 Depth=1
	s_mov_b64 s[4:5], 0
.LBB1_426:                              ;   in Loop: Header=BB1_84 Depth=1
	s_andn2_b64 vcc, exec, s[4:5]
	s_cbranch_vccnz .LBB1_428
; %bb.427:                              ;   in Loop: Header=BB1_84 Depth=1
	s_add_u32 s8, s36, 0x1000
	s_addc_u32 s9, s37, 0
	s_mov_b64 s[4:5], s[38:39]
	s_mov_b64 s[10:11], s[34:35]
	s_mov_b32 s12, s45
	s_mov_b32 s13, s44
	;; [unrolled: 1-line block ×3, first 2 shown]
	v_mov_b32_e32 v31, v40
	s_getpc_b64 s[6:7]
	s_add_u32 s6, s6, _Z53ncclDevFunc_Reduce_RING_SIMPLE_PreMulSum_f8e4m3_0_0_2v@rel32@lo+4
	s_addc_u32 s7, s7, _Z53ncclDevFunc_Reduce_RING_SIMPLE_PreMulSum_f8e4m3_0_0_2v@rel32@hi+12
	s_swappc_b64 s[30:31], s[6:7]
.LBB1_428:                              ;   in Loop: Header=BB1_84 Depth=1
	s_mov_b64 s[4:5], 0
.LBB1_429:                              ;   in Loop: Header=BB1_84 Depth=1
	s_and_b64 vcc, exec, s[4:5]
	s_cbranch_vccz .LBB1_438
; %bb.430:                              ;   in Loop: Header=BB1_84 Depth=1
	v_cmp_lt_i16_e64 s[6:7], s53, 39
	s_mov_b64 s[4:5], -1
	s_and_b64 vcc, exec, s[6:7]
	s_cbranch_vccnz .LBB1_436
; %bb.431:                              ;   in Loop: Header=BB1_84 Depth=1
	v_cmp_ne_u16_e64 s[6:7], s53, 39
	s_and_b64 vcc, exec, s[6:7]
	s_cbranch_vccz .LBB1_433
; %bb.432:                              ;   in Loop: Header=BB1_84 Depth=1
	s_add_u32 s8, s36, 0x1000
	s_addc_u32 s9, s37, 0
	s_mov_b64 s[4:5], s[38:39]
	s_mov_b64 s[10:11], s[34:35]
	s_mov_b32 s12, s45
	s_mov_b32 s13, s44
	;; [unrolled: 1-line block ×3, first 2 shown]
	v_mov_b32_e32 v31, v40
	s_getpc_b64 s[6:7]
	s_add_u32 s6, s6, _Z51ncclDevFunc_Reduce_RING_SIMPLE_PreMulSum_bf16_0_1_2v@rel32@lo+4
	s_addc_u32 s7, s7, _Z51ncclDevFunc_Reduce_RING_SIMPLE_PreMulSum_bf16_0_1_2v@rel32@hi+12
	s_swappc_b64 s[30:31], s[6:7]
	s_mov_b64 s[4:5], 0
.LBB1_433:                              ;   in Loop: Header=BB1_84 Depth=1
	s_andn2_b64 vcc, exec, s[4:5]
	s_cbranch_vccnz .LBB1_435
; %bb.434:                              ;   in Loop: Header=BB1_84 Depth=1
	s_add_u32 s8, s36, 0x1000
	s_addc_u32 s9, s37, 0
	s_mov_b64 s[4:5], s[38:39]
	s_mov_b64 s[10:11], s[34:35]
	s_mov_b32 s12, s45
	s_mov_b32 s13, s44
	;; [unrolled: 1-line block ×3, first 2 shown]
	v_mov_b32_e32 v31, v40
	s_getpc_b64 s[6:7]
	s_add_u32 s6, s6, _Z51ncclDevFunc_Reduce_RING_SIMPLE_PreMulSum_bf16_0_0_2v@rel32@lo+4
	s_addc_u32 s7, s7, _Z51ncclDevFunc_Reduce_RING_SIMPLE_PreMulSum_bf16_0_0_2v@rel32@hi+12
	s_swappc_b64 s[30:31], s[6:7]
.LBB1_435:                              ;   in Loop: Header=BB1_84 Depth=1
	s_mov_b64 s[4:5], 0
.LBB1_436:                              ;   in Loop: Header=BB1_84 Depth=1
	s_andn2_b64 vcc, exec, s[4:5]
	s_cbranch_vccnz .LBB1_438
; %bb.437:                              ;   in Loop: Header=BB1_84 Depth=1
	s_add_u32 s8, s36, 0x1000
	s_addc_u32 s9, s37, 0
	s_mov_b64 s[4:5], s[38:39]
	s_mov_b64 s[10:11], s[34:35]
	s_mov_b32 s12, s45
	s_mov_b32 s13, s44
	;; [unrolled: 1-line block ×3, first 2 shown]
	v_mov_b32_e32 v31, v40
	s_getpc_b64 s[6:7]
	s_add_u32 s6, s6, _Z50ncclDevFunc_Reduce_RING_SIMPLE_PreMulSum_f64_0_0_2v@rel32@lo+4
	s_addc_u32 s7, s7, _Z50ncclDevFunc_Reduce_RING_SIMPLE_PreMulSum_f64_0_0_2v@rel32@hi+12
	s_swappc_b64 s[30:31], s[6:7]
.LBB1_438:                              ;   in Loop: Header=BB1_84 Depth=1
	s_mov_b64 s[4:5], 0
.LBB1_439:                              ;   in Loop: Header=BB1_84 Depth=1
	s_andn2_b64 vcc, exec, s[4:5]
	s_cbranch_vccnz .LBB1_455
; %bb.440:                              ;   in Loop: Header=BB1_84 Depth=1
	s_cmp_gt_u32 s53, 34
	s_mov_b64 s[4:5], -1
	s_cbranch_scc0 .LBB1_450
; %bb.441:                              ;   in Loop: Header=BB1_84 Depth=1
	v_cmp_lt_i16_e64 s[6:7], s53, 36
	s_and_b64 vcc, exec, s[6:7]
	s_cbranch_vccnz .LBB1_447
; %bb.442:                              ;   in Loop: Header=BB1_84 Depth=1
	v_cmp_ne_u16_e64 s[6:7], s53, 36
	s_and_b64 vcc, exec, s[6:7]
	s_cbranch_vccz .LBB1_444
; %bb.443:                              ;   in Loop: Header=BB1_84 Depth=1
	s_add_u32 s8, s36, 0x1000
	s_addc_u32 s9, s37, 0
	s_mov_b64 s[4:5], s[38:39]
	s_mov_b64 s[10:11], s[34:35]
	s_mov_b32 s12, s45
	s_mov_b32 s13, s44
	s_mov_b32 s14, s33
	v_mov_b32_e32 v31, v40
	s_getpc_b64 s[6:7]
	s_add_u32 s6, s6, _Z50ncclDevFunc_Reduce_RING_SIMPLE_PreMulSum_f32_0_0_2v@rel32@lo+4
	s_addc_u32 s7, s7, _Z50ncclDevFunc_Reduce_RING_SIMPLE_PreMulSum_f32_0_0_2v@rel32@hi+12
	s_swappc_b64 s[30:31], s[6:7]
	s_mov_b64 s[4:5], 0
.LBB1_444:                              ;   in Loop: Header=BB1_84 Depth=1
	s_andn2_b64 vcc, exec, s[4:5]
	s_cbranch_vccnz .LBB1_446
; %bb.445:                              ;   in Loop: Header=BB1_84 Depth=1
	s_add_u32 s8, s36, 0x1000
	s_addc_u32 s9, s37, 0
	s_mov_b64 s[4:5], s[38:39]
	s_mov_b64 s[10:11], s[34:35]
	s_mov_b32 s12, s45
	s_mov_b32 s13, s44
	;; [unrolled: 1-line block ×3, first 2 shown]
	v_mov_b32_e32 v31, v40
	s_getpc_b64 s[6:7]
	s_add_u32 s6, s6, _Z50ncclDevFunc_Reduce_RING_SIMPLE_PreMulSum_f16_0_0_2v@rel32@lo+4
	s_addc_u32 s7, s7, _Z50ncclDevFunc_Reduce_RING_SIMPLE_PreMulSum_f16_0_0_2v@rel32@hi+12
	s_swappc_b64 s[30:31], s[6:7]
.LBB1_446:                              ;   in Loop: Header=BB1_84 Depth=1
	s_mov_b64 s[4:5], 0
.LBB1_447:                              ;   in Loop: Header=BB1_84 Depth=1
	s_andn2_b64 vcc, exec, s[4:5]
	s_cbranch_vccnz .LBB1_449
; %bb.448:                              ;   in Loop: Header=BB1_84 Depth=1
	s_add_u32 s8, s36, 0x1000
	s_addc_u32 s9, s37, 0
	s_mov_b64 s[4:5], s[38:39]
	s_mov_b64 s[10:11], s[34:35]
	s_mov_b32 s12, s45
	s_mov_b32 s13, s44
	;; [unrolled: 1-line block ×3, first 2 shown]
	v_mov_b32_e32 v31, v40
	s_getpc_b64 s[6:7]
	s_add_u32 s6, s6, _Z50ncclDevFunc_Reduce_RING_SIMPLE_PreMulSum_u64_0_0_2v@rel32@lo+4
	s_addc_u32 s7, s7, _Z50ncclDevFunc_Reduce_RING_SIMPLE_PreMulSum_u64_0_0_2v@rel32@hi+12
	s_swappc_b64 s[30:31], s[6:7]
.LBB1_449:                              ;   in Loop: Header=BB1_84 Depth=1
	s_mov_b64 s[4:5], 0
.LBB1_450:                              ;   in Loop: Header=BB1_84 Depth=1
	s_and_b64 vcc, exec, s[4:5]
	s_cbranch_vccz .LBB1_455
; %bb.451:                              ;   in Loop: Header=BB1_84 Depth=1
	s_cmp_eq_u32 s53, 34
	s_mov_b64 s[4:5], -1
	s_cbranch_scc1 .LBB1_453
; %bb.452:                              ;   in Loop: Header=BB1_84 Depth=1
	s_add_u32 s8, s36, 0x1000
	s_addc_u32 s9, s37, 0
	s_mov_b64 s[4:5], s[38:39]
	s_mov_b64 s[10:11], s[34:35]
	s_mov_b32 s12, s45
	s_mov_b32 s13, s44
	;; [unrolled: 1-line block ×3, first 2 shown]
	v_mov_b32_e32 v31, v40
	s_getpc_b64 s[6:7]
	s_add_u32 s6, s6, _Z49ncclDevFunc_Reduce_RING_SIMPLE_PreMulSum_u8_0_0_2v@rel32@lo+4
	s_addc_u32 s7, s7, _Z49ncclDevFunc_Reduce_RING_SIMPLE_PreMulSum_u8_0_0_2v@rel32@hi+12
	s_swappc_b64 s[30:31], s[6:7]
	s_mov_b64 s[4:5], 0
.LBB1_453:                              ;   in Loop: Header=BB1_84 Depth=1
	s_andn2_b64 vcc, exec, s[4:5]
	s_cbranch_vccnz .LBB1_455
; %bb.454:                              ;   in Loop: Header=BB1_84 Depth=1
	s_add_u32 s8, s36, 0x1000
	s_addc_u32 s9, s37, 0
	s_mov_b64 s[4:5], s[38:39]
	s_mov_b64 s[10:11], s[34:35]
	s_mov_b32 s12, s45
	s_mov_b32 s13, s44
	;; [unrolled: 1-line block ×3, first 2 shown]
	v_mov_b32_e32 v31, v40
	s_getpc_b64 s[6:7]
	s_add_u32 s6, s6, _Z50ncclDevFunc_Reduce_RING_SIMPLE_PreMulSum_u32_0_0_2v@rel32@lo+4
	s_addc_u32 s7, s7, _Z50ncclDevFunc_Reduce_RING_SIMPLE_PreMulSum_u32_0_0_2v@rel32@hi+12
	s_swappc_b64 s[30:31], s[6:7]
.LBB1_455:                              ;   in Loop: Header=BB1_84 Depth=1
	s_mov_b64 s[4:5], 0
.LBB1_456:                              ;   in Loop: Header=BB1_84 Depth=1
	s_andn2_b64 vcc, exec, s[4:5]
	s_cbranch_vccnz .LBB1_494
; %bb.457:                              ;   in Loop: Header=BB1_84 Depth=1
	s_cmp_gt_u32 s53, 26
	s_mov_b64 s[4:5], -1
	s_cbranch_scc0 .LBB1_478
; %bb.458:                              ;   in Loop: Header=BB1_84 Depth=1
	s_cmp_gt_u32 s53, 29
	s_cbranch_scc0 .LBB1_468
; %bb.459:                              ;   in Loop: Header=BB1_84 Depth=1
	v_cmp_lt_i16_e64 s[6:7], s53, 31
	s_and_b64 vcc, exec, s[6:7]
	s_cbranch_vccnz .LBB1_465
; %bb.460:                              ;   in Loop: Header=BB1_84 Depth=1
	v_cmp_ne_u16_e64 s[6:7], s53, 31
	s_and_b64 vcc, exec, s[6:7]
	s_cbranch_vccz .LBB1_462
; %bb.461:                              ;   in Loop: Header=BB1_84 Depth=1
	s_add_u32 s8, s36, 0x1000
	s_addc_u32 s9, s37, 0
	s_mov_b64 s[4:5], s[38:39]
	s_mov_b64 s[10:11], s[34:35]
	s_mov_b32 s12, s45
	s_mov_b32 s13, s44
	s_mov_b32 s14, s33
	v_mov_b32_e32 v31, v40
	s_getpc_b64 s[6:7]
	s_add_u32 s6, s6, _Z50ncclDevFunc_Reduce_RING_SIMPLE_MinMax_f8e5m2_0_0_2v@rel32@lo+4
	s_addc_u32 s7, s7, _Z50ncclDevFunc_Reduce_RING_SIMPLE_MinMax_f8e5m2_0_0_2v@rel32@hi+12
	s_swappc_b64 s[30:31], s[6:7]
	s_mov_b64 s[4:5], 0
.LBB1_462:                              ;   in Loop: Header=BB1_84 Depth=1
	s_andn2_b64 vcc, exec, s[4:5]
	s_cbranch_vccnz .LBB1_464
; %bb.463:                              ;   in Loop: Header=BB1_84 Depth=1
	s_add_u32 s8, s36, 0x1000
	s_addc_u32 s9, s37, 0
	s_mov_b64 s[4:5], s[38:39]
	s_mov_b64 s[10:11], s[34:35]
	s_mov_b32 s12, s45
	s_mov_b32 s13, s44
	;; [unrolled: 1-line block ×3, first 2 shown]
	v_mov_b32_e32 v31, v40
	s_getpc_b64 s[6:7]
	s_add_u32 s6, s6, _Z50ncclDevFunc_Reduce_RING_SIMPLE_MinMax_f8e4m3_0_0_2v@rel32@lo+4
	s_addc_u32 s7, s7, _Z50ncclDevFunc_Reduce_RING_SIMPLE_MinMax_f8e4m3_0_0_2v@rel32@hi+12
	s_swappc_b64 s[30:31], s[6:7]
.LBB1_464:                              ;   in Loop: Header=BB1_84 Depth=1
	s_mov_b64 s[4:5], 0
.LBB1_465:                              ;   in Loop: Header=BB1_84 Depth=1
	s_andn2_b64 vcc, exec, s[4:5]
	s_cbranch_vccnz .LBB1_467
; %bb.466:                              ;   in Loop: Header=BB1_84 Depth=1
	s_add_u32 s8, s36, 0x1000
	s_addc_u32 s9, s37, 0
	s_mov_b64 s[4:5], s[38:39]
	s_mov_b64 s[10:11], s[34:35]
	s_mov_b32 s12, s45
	s_mov_b32 s13, s44
	;; [unrolled: 1-line block ×3, first 2 shown]
	v_mov_b32_e32 v31, v40
	s_getpc_b64 s[6:7]
	s_add_u32 s6, s6, _Z48ncclDevFunc_Reduce_RING_SIMPLE_MinMax_bf16_0_1_2v@rel32@lo+4
	s_addc_u32 s7, s7, _Z48ncclDevFunc_Reduce_RING_SIMPLE_MinMax_bf16_0_1_2v@rel32@hi+12
	s_swappc_b64 s[30:31], s[6:7]
.LBB1_467:                              ;   in Loop: Header=BB1_84 Depth=1
	s_mov_b64 s[4:5], 0
.LBB1_468:                              ;   in Loop: Header=BB1_84 Depth=1
	s_and_b64 vcc, exec, s[4:5]
	s_cbranch_vccz .LBB1_477
; %bb.469:                              ;   in Loop: Header=BB1_84 Depth=1
	v_cmp_lt_i16_e64 s[6:7], s53, 28
	s_mov_b64 s[4:5], -1
	s_and_b64 vcc, exec, s[6:7]
	s_cbranch_vccnz .LBB1_475
; %bb.470:                              ;   in Loop: Header=BB1_84 Depth=1
	v_cmp_ne_u16_e64 s[6:7], s53, 28
	s_and_b64 vcc, exec, s[6:7]
	s_cbranch_vccz .LBB1_472
; %bb.471:                              ;   in Loop: Header=BB1_84 Depth=1
	s_add_u32 s8, s36, 0x1000
	s_addc_u32 s9, s37, 0
	s_mov_b64 s[4:5], s[38:39]
	s_mov_b64 s[10:11], s[34:35]
	s_mov_b32 s12, s45
	s_mov_b32 s13, s44
	;; [unrolled: 1-line block ×3, first 2 shown]
	v_mov_b32_e32 v31, v40
	s_getpc_b64 s[6:7]
	s_add_u32 s6, s6, _Z48ncclDevFunc_Reduce_RING_SIMPLE_MinMax_bf16_0_0_2v@rel32@lo+4
	s_addc_u32 s7, s7, _Z48ncclDevFunc_Reduce_RING_SIMPLE_MinMax_bf16_0_0_2v@rel32@hi+12
	s_swappc_b64 s[30:31], s[6:7]
	s_mov_b64 s[4:5], 0
.LBB1_472:                              ;   in Loop: Header=BB1_84 Depth=1
	s_andn2_b64 vcc, exec, s[4:5]
	s_cbranch_vccnz .LBB1_474
; %bb.473:                              ;   in Loop: Header=BB1_84 Depth=1
	s_add_u32 s8, s36, 0x1000
	s_addc_u32 s9, s37, 0
	s_mov_b64 s[4:5], s[38:39]
	s_mov_b64 s[10:11], s[34:35]
	s_mov_b32 s12, s45
	s_mov_b32 s13, s44
	;; [unrolled: 1-line block ×3, first 2 shown]
	v_mov_b32_e32 v31, v40
	s_getpc_b64 s[6:7]
	s_add_u32 s6, s6, _Z47ncclDevFunc_Reduce_RING_SIMPLE_MinMax_f64_0_0_2v@rel32@lo+4
	s_addc_u32 s7, s7, _Z47ncclDevFunc_Reduce_RING_SIMPLE_MinMax_f64_0_0_2v@rel32@hi+12
	s_swappc_b64 s[30:31], s[6:7]
.LBB1_474:                              ;   in Loop: Header=BB1_84 Depth=1
	s_mov_b64 s[4:5], 0
.LBB1_475:                              ;   in Loop: Header=BB1_84 Depth=1
	s_andn2_b64 vcc, exec, s[4:5]
	s_cbranch_vccnz .LBB1_477
; %bb.476:                              ;   in Loop: Header=BB1_84 Depth=1
	s_add_u32 s8, s36, 0x1000
	s_addc_u32 s9, s37, 0
	s_mov_b64 s[4:5], s[38:39]
	s_mov_b64 s[10:11], s[34:35]
	s_mov_b32 s12, s45
	s_mov_b32 s13, s44
	;; [unrolled: 1-line block ×3, first 2 shown]
	v_mov_b32_e32 v31, v40
	s_getpc_b64 s[6:7]
	s_add_u32 s6, s6, _Z47ncclDevFunc_Reduce_RING_SIMPLE_MinMax_f32_0_0_2v@rel32@lo+4
	s_addc_u32 s7, s7, _Z47ncclDevFunc_Reduce_RING_SIMPLE_MinMax_f32_0_0_2v@rel32@hi+12
	s_swappc_b64 s[30:31], s[6:7]
.LBB1_477:                              ;   in Loop: Header=BB1_84 Depth=1
	s_mov_b64 s[4:5], 0
.LBB1_478:                              ;   in Loop: Header=BB1_84 Depth=1
	s_andn2_b64 vcc, exec, s[4:5]
	s_cbranch_vccnz .LBB1_494
; %bb.479:                              ;   in Loop: Header=BB1_84 Depth=1
	s_cmp_gt_u32 s53, 23
	s_mov_b64 s[4:5], -1
	s_cbranch_scc0 .LBB1_489
; %bb.480:                              ;   in Loop: Header=BB1_84 Depth=1
	v_cmp_lt_i16_e64 s[6:7], s53, 25
	s_and_b64 vcc, exec, s[6:7]
	s_cbranch_vccnz .LBB1_486
; %bb.481:                              ;   in Loop: Header=BB1_84 Depth=1
	v_cmp_ne_u16_e64 s[6:7], s53, 25
	s_and_b64 vcc, exec, s[6:7]
	s_cbranch_vccz .LBB1_483
; %bb.482:                              ;   in Loop: Header=BB1_84 Depth=1
	s_add_u32 s8, s36, 0x1000
	s_addc_u32 s9, s37, 0
	s_mov_b64 s[4:5], s[38:39]
	s_mov_b64 s[10:11], s[34:35]
	s_mov_b32 s12, s45
	s_mov_b32 s13, s44
	;; [unrolled: 1-line block ×3, first 2 shown]
	v_mov_b32_e32 v31, v40
	s_getpc_b64 s[6:7]
	s_add_u32 s6, s6, _Z47ncclDevFunc_Reduce_RING_SIMPLE_MinMax_f16_0_0_2v@rel32@lo+4
	s_addc_u32 s7, s7, _Z47ncclDevFunc_Reduce_RING_SIMPLE_MinMax_f16_0_0_2v@rel32@hi+12
	s_swappc_b64 s[30:31], s[6:7]
	s_mov_b64 s[4:5], 0
.LBB1_483:                              ;   in Loop: Header=BB1_84 Depth=1
	s_andn2_b64 vcc, exec, s[4:5]
	s_cbranch_vccnz .LBB1_485
; %bb.484:                              ;   in Loop: Header=BB1_84 Depth=1
	s_add_u32 s8, s36, 0x1000
	s_addc_u32 s9, s37, 0
	s_mov_b64 s[4:5], s[38:39]
	s_mov_b64 s[10:11], s[34:35]
	s_mov_b32 s12, s45
	s_mov_b32 s13, s44
	;; [unrolled: 1-line block ×3, first 2 shown]
	v_mov_b32_e32 v31, v40
	s_getpc_b64 s[6:7]
	s_add_u32 s6, s6, _Z47ncclDevFunc_Reduce_RING_SIMPLE_MinMax_u64_0_0_2v@rel32@lo+4
	s_addc_u32 s7, s7, _Z47ncclDevFunc_Reduce_RING_SIMPLE_MinMax_u64_0_0_2v@rel32@hi+12
	s_swappc_b64 s[30:31], s[6:7]
.LBB1_485:                              ;   in Loop: Header=BB1_84 Depth=1
	s_mov_b64 s[4:5], 0
.LBB1_486:                              ;   in Loop: Header=BB1_84 Depth=1
	s_andn2_b64 vcc, exec, s[4:5]
	s_cbranch_vccnz .LBB1_488
; %bb.487:                              ;   in Loop: Header=BB1_84 Depth=1
	s_add_u32 s8, s36, 0x1000
	s_addc_u32 s9, s37, 0
	s_mov_b64 s[4:5], s[38:39]
	s_mov_b64 s[10:11], s[34:35]
	s_mov_b32 s12, s45
	s_mov_b32 s13, s44
	;; [unrolled: 1-line block ×3, first 2 shown]
	v_mov_b32_e32 v31, v40
	s_getpc_b64 s[6:7]
	s_add_u32 s6, s6, _Z47ncclDevFunc_Reduce_RING_SIMPLE_MinMax_u32_0_0_2v@rel32@lo+4
	s_addc_u32 s7, s7, _Z47ncclDevFunc_Reduce_RING_SIMPLE_MinMax_u32_0_0_2v@rel32@hi+12
	s_swappc_b64 s[30:31], s[6:7]
.LBB1_488:                              ;   in Loop: Header=BB1_84 Depth=1
	s_mov_b64 s[4:5], 0
.LBB1_489:                              ;   in Loop: Header=BB1_84 Depth=1
	s_and_b64 vcc, exec, s[4:5]
	s_cbranch_vccz .LBB1_494
; %bb.490:                              ;   in Loop: Header=BB1_84 Depth=1
	s_cmp_eq_u32 s53, 23
	s_mov_b64 s[4:5], -1
	s_cbranch_scc1 .LBB1_492
; %bb.491:                              ;   in Loop: Header=BB1_84 Depth=1
	s_add_u32 s8, s36, 0x1000
	s_addc_u32 s9, s37, 0
	s_mov_b64 s[4:5], s[38:39]
	s_mov_b64 s[10:11], s[34:35]
	s_mov_b32 s12, s45
	s_mov_b32 s13, s44
	;; [unrolled: 1-line block ×3, first 2 shown]
	v_mov_b32_e32 v31, v40
	s_getpc_b64 s[6:7]
	s_add_u32 s6, s6, _Z48ncclDevFunc_Reduce_RING_SIMPLE_Prod_f8e5m2_0_0_2v@rel32@lo+4
	s_addc_u32 s7, s7, _Z48ncclDevFunc_Reduce_RING_SIMPLE_Prod_f8e5m2_0_0_2v@rel32@hi+12
	s_swappc_b64 s[30:31], s[6:7]
	s_mov_b64 s[4:5], 0
.LBB1_492:                              ;   in Loop: Header=BB1_84 Depth=1
	s_andn2_b64 vcc, exec, s[4:5]
	s_cbranch_vccnz .LBB1_494
; %bb.493:                              ;   in Loop: Header=BB1_84 Depth=1
	s_add_u32 s8, s36, 0x1000
	s_addc_u32 s9, s37, 0
	s_mov_b64 s[4:5], s[38:39]
	s_mov_b64 s[10:11], s[34:35]
	s_mov_b32 s12, s45
	s_mov_b32 s13, s44
	;; [unrolled: 1-line block ×3, first 2 shown]
	v_mov_b32_e32 v31, v40
	s_getpc_b64 s[6:7]
	s_add_u32 s6, s6, _Z46ncclDevFunc_Reduce_RING_SIMPLE_MinMax_u8_0_0_2v@rel32@lo+4
	s_addc_u32 s7, s7, _Z46ncclDevFunc_Reduce_RING_SIMPLE_MinMax_u8_0_0_2v@rel32@hi+12
	s_swappc_b64 s[30:31], s[6:7]
.LBB1_494:                              ;   in Loop: Header=BB1_84 Depth=1
	s_mov_b64 s[4:5], 0
.LBB1_495:                              ;   in Loop: Header=BB1_84 Depth=1
	s_andn2_b64 vcc, exec, s[4:5]
	s_cbranch_vccnz .LBB1_570
; %bb.496:                              ;   in Loop: Header=BB1_84 Depth=1
	s_cmp_gt_u32 s53, 10
	s_mov_b64 s[4:5], -1
	s_cbranch_scc0 .LBB1_535
; %bb.497:                              ;   in Loop: Header=BB1_84 Depth=1
	s_cmp_gt_u32 s53, 15
	s_cbranch_scc0 .LBB1_518
; %bb.498:                              ;   in Loop: Header=BB1_84 Depth=1
	s_cmp_gt_u32 s53, 18
	s_cbranch_scc0 .LBB1_508
; %bb.499:                              ;   in Loop: Header=BB1_84 Depth=1
	v_cmp_lt_i16_e64 s[6:7], s53, 20
	s_and_b64 vcc, exec, s[6:7]
	s_cbranch_vccnz .LBB1_505
; %bb.500:                              ;   in Loop: Header=BB1_84 Depth=1
	v_cmp_ne_u16_e64 s[6:7], s53, 20
	s_and_b64 vcc, exec, s[6:7]
	s_cbranch_vccz .LBB1_502
; %bb.501:                              ;   in Loop: Header=BB1_84 Depth=1
	s_add_u32 s8, s36, 0x1000
	s_addc_u32 s9, s37, 0
	s_mov_b64 s[4:5], s[38:39]
	s_mov_b64 s[10:11], s[34:35]
	s_mov_b32 s12, s45
	s_mov_b32 s13, s44
	;; [unrolled: 1-line block ×3, first 2 shown]
	v_mov_b32_e32 v31, v40
	s_getpc_b64 s[6:7]
	s_add_u32 s6, s6, _Z48ncclDevFunc_Reduce_RING_SIMPLE_Prod_f8e4m3_0_0_2v@rel32@lo+4
	s_addc_u32 s7, s7, _Z48ncclDevFunc_Reduce_RING_SIMPLE_Prod_f8e4m3_0_0_2v@rel32@hi+12
	s_swappc_b64 s[30:31], s[6:7]
	s_mov_b64 s[4:5], 0
.LBB1_502:                              ;   in Loop: Header=BB1_84 Depth=1
	s_andn2_b64 vcc, exec, s[4:5]
	s_cbranch_vccnz .LBB1_504
; %bb.503:                              ;   in Loop: Header=BB1_84 Depth=1
	s_add_u32 s8, s36, 0x1000
	s_addc_u32 s9, s37, 0
	s_mov_b64 s[4:5], s[38:39]
	s_mov_b64 s[10:11], s[34:35]
	s_mov_b32 s12, s45
	s_mov_b32 s13, s44
	;; [unrolled: 1-line block ×3, first 2 shown]
	v_mov_b32_e32 v31, v40
	s_getpc_b64 s[6:7]
	s_add_u32 s6, s6, _Z46ncclDevFunc_Reduce_RING_SIMPLE_Prod_bf16_0_1_2v@rel32@lo+4
	s_addc_u32 s7, s7, _Z46ncclDevFunc_Reduce_RING_SIMPLE_Prod_bf16_0_1_2v@rel32@hi+12
	s_swappc_b64 s[30:31], s[6:7]
.LBB1_504:                              ;   in Loop: Header=BB1_84 Depth=1
	s_mov_b64 s[4:5], 0
.LBB1_505:                              ;   in Loop: Header=BB1_84 Depth=1
	s_andn2_b64 vcc, exec, s[4:5]
	s_cbranch_vccnz .LBB1_507
; %bb.506:                              ;   in Loop: Header=BB1_84 Depth=1
	s_add_u32 s8, s36, 0x1000
	s_addc_u32 s9, s37, 0
	s_mov_b64 s[4:5], s[38:39]
	s_mov_b64 s[10:11], s[34:35]
	s_mov_b32 s12, s45
	s_mov_b32 s13, s44
	;; [unrolled: 1-line block ×3, first 2 shown]
	v_mov_b32_e32 v31, v40
	s_getpc_b64 s[6:7]
	s_add_u32 s6, s6, _Z46ncclDevFunc_Reduce_RING_SIMPLE_Prod_bf16_0_0_2v@rel32@lo+4
	s_addc_u32 s7, s7, _Z46ncclDevFunc_Reduce_RING_SIMPLE_Prod_bf16_0_0_2v@rel32@hi+12
	s_swappc_b64 s[30:31], s[6:7]
.LBB1_507:                              ;   in Loop: Header=BB1_84 Depth=1
	s_mov_b64 s[4:5], 0
.LBB1_508:                              ;   in Loop: Header=BB1_84 Depth=1
	s_and_b64 vcc, exec, s[4:5]
	s_cbranch_vccz .LBB1_517
; %bb.509:                              ;   in Loop: Header=BB1_84 Depth=1
	v_cmp_lt_i16_e64 s[6:7], s53, 17
	s_mov_b64 s[4:5], -1
	s_and_b64 vcc, exec, s[6:7]
	s_cbranch_vccnz .LBB1_515
; %bb.510:                              ;   in Loop: Header=BB1_84 Depth=1
	v_cmp_ne_u16_e64 s[6:7], s53, 17
	s_and_b64 vcc, exec, s[6:7]
	s_cbranch_vccz .LBB1_512
; %bb.511:                              ;   in Loop: Header=BB1_84 Depth=1
	s_add_u32 s8, s36, 0x1000
	s_addc_u32 s9, s37, 0
	s_mov_b64 s[4:5], s[38:39]
	s_mov_b64 s[10:11], s[34:35]
	s_mov_b32 s12, s45
	s_mov_b32 s13, s44
	;; [unrolled: 1-line block ×3, first 2 shown]
	v_mov_b32_e32 v31, v40
	s_getpc_b64 s[6:7]
	s_add_u32 s6, s6, _Z45ncclDevFunc_Reduce_RING_SIMPLE_Prod_f64_0_0_2v@rel32@lo+4
	s_addc_u32 s7, s7, _Z45ncclDevFunc_Reduce_RING_SIMPLE_Prod_f64_0_0_2v@rel32@hi+12
	s_swappc_b64 s[30:31], s[6:7]
	s_mov_b64 s[4:5], 0
.LBB1_512:                              ;   in Loop: Header=BB1_84 Depth=1
	s_andn2_b64 vcc, exec, s[4:5]
	s_cbranch_vccnz .LBB1_514
; %bb.513:                              ;   in Loop: Header=BB1_84 Depth=1
	s_add_u32 s8, s36, 0x1000
	s_addc_u32 s9, s37, 0
	s_mov_b64 s[4:5], s[38:39]
	s_mov_b64 s[10:11], s[34:35]
	s_mov_b32 s12, s45
	s_mov_b32 s13, s44
	;; [unrolled: 1-line block ×3, first 2 shown]
	v_mov_b32_e32 v31, v40
	s_getpc_b64 s[6:7]
	s_add_u32 s6, s6, _Z45ncclDevFunc_Reduce_RING_SIMPLE_Prod_f32_0_0_2v@rel32@lo+4
	s_addc_u32 s7, s7, _Z45ncclDevFunc_Reduce_RING_SIMPLE_Prod_f32_0_0_2v@rel32@hi+12
	s_swappc_b64 s[30:31], s[6:7]
.LBB1_514:                              ;   in Loop: Header=BB1_84 Depth=1
	s_mov_b64 s[4:5], 0
.LBB1_515:                              ;   in Loop: Header=BB1_84 Depth=1
	s_andn2_b64 vcc, exec, s[4:5]
	s_cbranch_vccnz .LBB1_517
; %bb.516:                              ;   in Loop: Header=BB1_84 Depth=1
	s_add_u32 s8, s36, 0x1000
	s_addc_u32 s9, s37, 0
	s_mov_b64 s[4:5], s[38:39]
	s_mov_b64 s[10:11], s[34:35]
	s_mov_b32 s12, s45
	s_mov_b32 s13, s44
	;; [unrolled: 1-line block ×3, first 2 shown]
	v_mov_b32_e32 v31, v40
	s_getpc_b64 s[6:7]
	s_add_u32 s6, s6, _Z45ncclDevFunc_Reduce_RING_SIMPLE_Prod_f16_0_0_2v@rel32@lo+4
	s_addc_u32 s7, s7, _Z45ncclDevFunc_Reduce_RING_SIMPLE_Prod_f16_0_0_2v@rel32@hi+12
	s_swappc_b64 s[30:31], s[6:7]
.LBB1_517:                              ;   in Loop: Header=BB1_84 Depth=1
	s_mov_b64 s[4:5], 0
.LBB1_518:                              ;   in Loop: Header=BB1_84 Depth=1
	s_andn2_b64 vcc, exec, s[4:5]
	s_cbranch_vccnz .LBB1_534
; %bb.519:                              ;   in Loop: Header=BB1_84 Depth=1
	s_cmp_gt_u32 s53, 12
	s_mov_b64 s[4:5], -1
	s_cbranch_scc0 .LBB1_529
; %bb.520:                              ;   in Loop: Header=BB1_84 Depth=1
	v_cmp_lt_i16_e64 s[6:7], s53, 14
	s_and_b64 vcc, exec, s[6:7]
	s_cbranch_vccnz .LBB1_526
; %bb.521:                              ;   in Loop: Header=BB1_84 Depth=1
	v_cmp_ne_u16_e64 s[6:7], s53, 14
	s_and_b64 vcc, exec, s[6:7]
	s_cbranch_vccz .LBB1_523
; %bb.522:                              ;   in Loop: Header=BB1_84 Depth=1
	s_add_u32 s8, s36, 0x1000
	s_addc_u32 s9, s37, 0
	s_mov_b64 s[4:5], s[38:39]
	s_mov_b64 s[10:11], s[34:35]
	s_mov_b32 s12, s45
	s_mov_b32 s13, s44
	;; [unrolled: 1-line block ×3, first 2 shown]
	v_mov_b32_e32 v31, v40
	s_getpc_b64 s[6:7]
	s_add_u32 s6, s6, _Z45ncclDevFunc_Reduce_RING_SIMPLE_Prod_u64_0_0_2v@rel32@lo+4
	s_addc_u32 s7, s7, _Z45ncclDevFunc_Reduce_RING_SIMPLE_Prod_u64_0_0_2v@rel32@hi+12
	s_swappc_b64 s[30:31], s[6:7]
	s_mov_b64 s[4:5], 0
.LBB1_523:                              ;   in Loop: Header=BB1_84 Depth=1
	s_andn2_b64 vcc, exec, s[4:5]
	s_cbranch_vccnz .LBB1_525
; %bb.524:                              ;   in Loop: Header=BB1_84 Depth=1
	s_add_u32 s8, s36, 0x1000
	s_addc_u32 s9, s37, 0
	s_mov_b64 s[4:5], s[38:39]
	s_mov_b64 s[10:11], s[34:35]
	s_mov_b32 s12, s45
	s_mov_b32 s13, s44
	;; [unrolled: 1-line block ×3, first 2 shown]
	v_mov_b32_e32 v31, v40
	s_getpc_b64 s[6:7]
	s_add_u32 s6, s6, _Z45ncclDevFunc_Reduce_RING_SIMPLE_Prod_u32_0_0_2v@rel32@lo+4
	s_addc_u32 s7, s7, _Z45ncclDevFunc_Reduce_RING_SIMPLE_Prod_u32_0_0_2v@rel32@hi+12
	s_swappc_b64 s[30:31], s[6:7]
.LBB1_525:                              ;   in Loop: Header=BB1_84 Depth=1
	s_mov_b64 s[4:5], 0
.LBB1_526:                              ;   in Loop: Header=BB1_84 Depth=1
	s_andn2_b64 vcc, exec, s[4:5]
	s_cbranch_vccnz .LBB1_528
; %bb.527:                              ;   in Loop: Header=BB1_84 Depth=1
	s_add_u32 s8, s36, 0x1000
	s_addc_u32 s9, s37, 0
	s_mov_b64 s[4:5], s[38:39]
	s_mov_b64 s[10:11], s[34:35]
	s_mov_b32 s12, s45
	s_mov_b32 s13, s44
	;; [unrolled: 1-line block ×3, first 2 shown]
	v_mov_b32_e32 v31, v40
	s_getpc_b64 s[6:7]
	s_add_u32 s6, s6, _Z44ncclDevFunc_Reduce_RING_SIMPLE_Prod_u8_0_0_2v@rel32@lo+4
	s_addc_u32 s7, s7, _Z44ncclDevFunc_Reduce_RING_SIMPLE_Prod_u8_0_0_2v@rel32@hi+12
	s_swappc_b64 s[30:31], s[6:7]
.LBB1_528:                              ;   in Loop: Header=BB1_84 Depth=1
	s_mov_b64 s[4:5], 0
.LBB1_529:                              ;   in Loop: Header=BB1_84 Depth=1
	s_and_b64 vcc, exec, s[4:5]
	s_cbranch_vccz .LBB1_534
; %bb.530:                              ;   in Loop: Header=BB1_84 Depth=1
	s_cmp_eq_u32 s53, 12
	s_mov_b64 s[4:5], -1
	s_cbranch_scc1 .LBB1_532
; %bb.531:                              ;   in Loop: Header=BB1_84 Depth=1
	s_add_u32 s8, s36, 0x1000
	s_addc_u32 s9, s37, 0
	s_mov_b64 s[4:5], s[38:39]
	s_mov_b64 s[10:11], s[34:35]
	s_mov_b32 s12, s45
	s_mov_b32 s13, s44
	;; [unrolled: 1-line block ×3, first 2 shown]
	v_mov_b32_e32 v31, v40
	s_getpc_b64 s[6:7]
	s_add_u32 s6, s6, _Z47ncclDevFunc_Reduce_RING_SIMPLE_Sum_f8e4m3_0_0_2v@rel32@lo+4
	s_addc_u32 s7, s7, _Z47ncclDevFunc_Reduce_RING_SIMPLE_Sum_f8e4m3_0_0_2v@rel32@hi+12
	s_swappc_b64 s[30:31], s[6:7]
	s_mov_b64 s[4:5], 0
.LBB1_532:                              ;   in Loop: Header=BB1_84 Depth=1
	s_andn2_b64 vcc, exec, s[4:5]
	s_cbranch_vccnz .LBB1_534
; %bb.533:                              ;   in Loop: Header=BB1_84 Depth=1
	s_add_u32 s8, s36, 0x1000
	s_addc_u32 s9, s37, 0
	s_mov_b64 s[4:5], s[38:39]
	s_mov_b64 s[10:11], s[34:35]
	s_mov_b32 s12, s45
	s_mov_b32 s13, s44
	;; [unrolled: 1-line block ×3, first 2 shown]
	v_mov_b32_e32 v31, v40
	s_getpc_b64 s[6:7]
	s_add_u32 s6, s6, _Z47ncclDevFunc_Reduce_RING_SIMPLE_Sum_f8e5m2_0_0_2v@rel32@lo+4
	s_addc_u32 s7, s7, _Z47ncclDevFunc_Reduce_RING_SIMPLE_Sum_f8e5m2_0_0_2v@rel32@hi+12
	s_swappc_b64 s[30:31], s[6:7]
.LBB1_534:                              ;   in Loop: Header=BB1_84 Depth=1
	s_mov_b64 s[4:5], 0
.LBB1_535:                              ;   in Loop: Header=BB1_84 Depth=1
	s_andn2_b64 vcc, exec, s[4:5]
	s_cbranch_vccnz .LBB1_570
; %bb.536:                              ;   in Loop: Header=BB1_84 Depth=1
	s_cmp_gt_u32 s53, 4
	s_mov_b64 s[4:5], -1
	s_cbranch_scc0 .LBB1_557
; %bb.537:                              ;   in Loop: Header=BB1_84 Depth=1
	s_cmp_gt_u32 s53, 7
	s_cbranch_scc0 .LBB1_547
; %bb.538:                              ;   in Loop: Header=BB1_84 Depth=1
	v_cmp_lt_i16_e64 s[6:7], s53, 9
	s_and_b64 vcc, exec, s[6:7]
	s_cbranch_vccnz .LBB1_544
; %bb.539:                              ;   in Loop: Header=BB1_84 Depth=1
	v_cmp_ne_u16_e64 s[6:7], s53, 9
	s_and_b64 vcc, exec, s[6:7]
	s_cbranch_vccz .LBB1_541
; %bb.540:                              ;   in Loop: Header=BB1_84 Depth=1
	s_add_u32 s8, s36, 0x1000
	s_addc_u32 s9, s37, 0
	s_mov_b64 s[4:5], s[38:39]
	s_mov_b64 s[10:11], s[34:35]
	s_mov_b32 s12, s45
	s_mov_b32 s13, s44
	s_mov_b32 s14, s33
	v_mov_b32_e32 v31, v40
	s_getpc_b64 s[6:7]
	s_add_u32 s6, s6, _Z45ncclDevFunc_Reduce_RING_SIMPLE_Sum_bf16_0_1_2v@rel32@lo+4
	s_addc_u32 s7, s7, _Z45ncclDevFunc_Reduce_RING_SIMPLE_Sum_bf16_0_1_2v@rel32@hi+12
	s_swappc_b64 s[30:31], s[6:7]
	s_mov_b64 s[4:5], 0
.LBB1_541:                              ;   in Loop: Header=BB1_84 Depth=1
	s_andn2_b64 vcc, exec, s[4:5]
	s_cbranch_vccnz .LBB1_543
; %bb.542:                              ;   in Loop: Header=BB1_84 Depth=1
	s_add_u32 s8, s36, 0x1000
	s_addc_u32 s9, s37, 0
	s_mov_b64 s[4:5], s[38:39]
	s_mov_b64 s[10:11], s[34:35]
	s_mov_b32 s12, s45
	s_mov_b32 s13, s44
	;; [unrolled: 1-line block ×3, first 2 shown]
	v_mov_b32_e32 v31, v40
	s_getpc_b64 s[6:7]
	s_add_u32 s6, s6, _Z45ncclDevFunc_Reduce_RING_SIMPLE_Sum_bf16_0_0_2v@rel32@lo+4
	s_addc_u32 s7, s7, _Z45ncclDevFunc_Reduce_RING_SIMPLE_Sum_bf16_0_0_2v@rel32@hi+12
	s_swappc_b64 s[30:31], s[6:7]
.LBB1_543:                              ;   in Loop: Header=BB1_84 Depth=1
	s_mov_b64 s[4:5], 0
.LBB1_544:                              ;   in Loop: Header=BB1_84 Depth=1
	s_andn2_b64 vcc, exec, s[4:5]
	s_cbranch_vccnz .LBB1_546
; %bb.545:                              ;   in Loop: Header=BB1_84 Depth=1
	s_add_u32 s8, s36, 0x1000
	s_addc_u32 s9, s37, 0
	s_mov_b64 s[4:5], s[38:39]
	s_mov_b64 s[10:11], s[34:35]
	s_mov_b32 s12, s45
	s_mov_b32 s13, s44
	;; [unrolled: 1-line block ×3, first 2 shown]
	v_mov_b32_e32 v31, v40
	s_getpc_b64 s[6:7]
	s_add_u32 s6, s6, _Z44ncclDevFunc_Reduce_RING_SIMPLE_Sum_f64_0_0_2v@rel32@lo+4
	s_addc_u32 s7, s7, _Z44ncclDevFunc_Reduce_RING_SIMPLE_Sum_f64_0_0_2v@rel32@hi+12
	s_swappc_b64 s[30:31], s[6:7]
.LBB1_546:                              ;   in Loop: Header=BB1_84 Depth=1
	s_mov_b64 s[4:5], 0
.LBB1_547:                              ;   in Loop: Header=BB1_84 Depth=1
	s_and_b64 vcc, exec, s[4:5]
	s_cbranch_vccz .LBB1_556
; %bb.548:                              ;   in Loop: Header=BB1_84 Depth=1
	v_cmp_lt_i16_e64 s[6:7], s53, 6
	s_mov_b64 s[4:5], -1
	s_and_b64 vcc, exec, s[6:7]
	s_cbranch_vccnz .LBB1_554
; %bb.549:                              ;   in Loop: Header=BB1_84 Depth=1
	v_cmp_ne_u16_e64 s[6:7], s53, 6
	s_and_b64 vcc, exec, s[6:7]
	s_cbranch_vccz .LBB1_551
; %bb.550:                              ;   in Loop: Header=BB1_84 Depth=1
	s_add_u32 s8, s36, 0x1000
	s_addc_u32 s9, s37, 0
	s_mov_b64 s[4:5], s[38:39]
	s_mov_b64 s[10:11], s[34:35]
	s_mov_b32 s12, s45
	s_mov_b32 s13, s44
	;; [unrolled: 1-line block ×3, first 2 shown]
	v_mov_b32_e32 v31, v40
	s_getpc_b64 s[6:7]
	s_add_u32 s6, s6, _Z44ncclDevFunc_Reduce_RING_SIMPLE_Sum_f32_0_0_2v@rel32@lo+4
	s_addc_u32 s7, s7, _Z44ncclDevFunc_Reduce_RING_SIMPLE_Sum_f32_0_0_2v@rel32@hi+12
	s_swappc_b64 s[30:31], s[6:7]
	s_mov_b64 s[4:5], 0
.LBB1_551:                              ;   in Loop: Header=BB1_84 Depth=1
	s_andn2_b64 vcc, exec, s[4:5]
	s_cbranch_vccnz .LBB1_553
; %bb.552:                              ;   in Loop: Header=BB1_84 Depth=1
	s_add_u32 s8, s36, 0x1000
	s_addc_u32 s9, s37, 0
	s_mov_b64 s[4:5], s[38:39]
	s_mov_b64 s[10:11], s[34:35]
	s_mov_b32 s12, s45
	s_mov_b32 s13, s44
	;; [unrolled: 1-line block ×3, first 2 shown]
	v_mov_b32_e32 v31, v40
	s_getpc_b64 s[6:7]
	s_add_u32 s6, s6, _Z44ncclDevFunc_Reduce_RING_SIMPLE_Sum_f16_0_0_2v@rel32@lo+4
	s_addc_u32 s7, s7, _Z44ncclDevFunc_Reduce_RING_SIMPLE_Sum_f16_0_0_2v@rel32@hi+12
	s_swappc_b64 s[30:31], s[6:7]
.LBB1_553:                              ;   in Loop: Header=BB1_84 Depth=1
	s_mov_b64 s[4:5], 0
.LBB1_554:                              ;   in Loop: Header=BB1_84 Depth=1
	s_andn2_b64 vcc, exec, s[4:5]
	s_cbranch_vccnz .LBB1_556
; %bb.555:                              ;   in Loop: Header=BB1_84 Depth=1
	s_add_u32 s8, s36, 0x1000
	s_addc_u32 s9, s37, 0
	s_mov_b64 s[4:5], s[38:39]
	s_mov_b64 s[10:11], s[34:35]
	s_mov_b32 s12, s45
	s_mov_b32 s13, s44
	;; [unrolled: 1-line block ×3, first 2 shown]
	v_mov_b32_e32 v31, v40
	s_getpc_b64 s[6:7]
	s_add_u32 s6, s6, _Z44ncclDevFunc_Reduce_RING_SIMPLE_Sum_u64_0_0_2v@rel32@lo+4
	s_addc_u32 s7, s7, _Z44ncclDevFunc_Reduce_RING_SIMPLE_Sum_u64_0_0_2v@rel32@hi+12
	s_swappc_b64 s[30:31], s[6:7]
.LBB1_556:                              ;   in Loop: Header=BB1_84 Depth=1
	s_mov_b64 s[4:5], 0
.LBB1_557:                              ;   in Loop: Header=BB1_84 Depth=1
	s_andn2_b64 vcc, exec, s[4:5]
	s_cbranch_vccnz .LBB1_570
; %bb.558:                              ;   in Loop: Header=BB1_84 Depth=1
	s_cmp_gt_u32 s53, 1
	s_mov_b64 s[4:5], -1
	s_cbranch_scc0 .LBB1_568
; %bb.559:                              ;   in Loop: Header=BB1_84 Depth=1
	v_cmp_lt_i16_e64 s[6:7], s53, 3
	s_and_b64 vcc, exec, s[6:7]
	s_cbranch_vccnz .LBB1_565
; %bb.560:                              ;   in Loop: Header=BB1_84 Depth=1
	v_cmp_ne_u16_e64 s[6:7], s53, 3
	s_and_b64 vcc, exec, s[6:7]
	s_cbranch_vccz .LBB1_562
; %bb.561:                              ;   in Loop: Header=BB1_84 Depth=1
	s_add_u32 s8, s36, 0x1000
	s_addc_u32 s9, s37, 0
	s_mov_b64 s[4:5], s[38:39]
	s_mov_b64 s[10:11], s[34:35]
	s_mov_b32 s12, s45
	s_mov_b32 s13, s44
	;; [unrolled: 1-line block ×3, first 2 shown]
	v_mov_b32_e32 v31, v40
	s_getpc_b64 s[6:7]
	s_add_u32 s6, s6, _Z44ncclDevFunc_Reduce_RING_SIMPLE_Sum_u32_0_0_2v@rel32@lo+4
	s_addc_u32 s7, s7, _Z44ncclDevFunc_Reduce_RING_SIMPLE_Sum_u32_0_0_2v@rel32@hi+12
	s_swappc_b64 s[30:31], s[6:7]
	s_mov_b64 s[4:5], 0
.LBB1_562:                              ;   in Loop: Header=BB1_84 Depth=1
	s_andn2_b64 vcc, exec, s[4:5]
	s_cbranch_vccnz .LBB1_564
; %bb.563:                              ;   in Loop: Header=BB1_84 Depth=1
	s_add_u32 s8, s36, 0x1000
	s_addc_u32 s9, s37, 0
	s_mov_b64 s[4:5], s[38:39]
	s_mov_b64 s[10:11], s[34:35]
	s_mov_b32 s12, s45
	s_mov_b32 s13, s44
	;; [unrolled: 1-line block ×3, first 2 shown]
	v_mov_b32_e32 v31, v40
	s_getpc_b64 s[6:7]
	s_add_u32 s6, s6, _Z43ncclDevFunc_Reduce_RING_SIMPLE_Sum_u8_0_0_2v@rel32@lo+4
	s_addc_u32 s7, s7, _Z43ncclDevFunc_Reduce_RING_SIMPLE_Sum_u8_0_0_2v@rel32@hi+12
	s_swappc_b64 s[30:31], s[6:7]
.LBB1_564:                              ;   in Loop: Header=BB1_84 Depth=1
	s_mov_b64 s[4:5], 0
.LBB1_565:                              ;   in Loop: Header=BB1_84 Depth=1
	s_andn2_b64 vcc, exec, s[4:5]
	s_cbranch_vccnz .LBB1_567
; %bb.566:                              ;   in Loop: Header=BB1_84 Depth=1
	s_add_u32 s8, s36, 0x1000
	s_addc_u32 s9, s37, 0
	s_mov_b64 s[4:5], s[38:39]
	s_mov_b64 s[10:11], s[34:35]
	s_mov_b32 s12, s45
	s_mov_b32 s13, s44
	;; [unrolled: 1-line block ×3, first 2 shown]
	v_mov_b32_e32 v31, v40
	s_getpc_b64 s[6:7]
	s_add_u32 s6, s6, _Z46ncclDevFunc_Broadcast_RING_SIMPLE_Sum_i8_0_0_2v@rel32@lo+4
	s_addc_u32 s7, s7, _Z46ncclDevFunc_Broadcast_RING_SIMPLE_Sum_i8_0_0_2v@rel32@hi+12
	s_swappc_b64 s[30:31], s[6:7]
.LBB1_567:                              ;   in Loop: Header=BB1_84 Depth=1
	s_mov_b64 s[4:5], 0
.LBB1_568:                              ;   in Loop: Header=BB1_84 Depth=1
	s_and_b64 vcc, exec, s[4:5]
	s_cbranch_vccz .LBB1_570
; %bb.569:                              ;   in Loop: Header=BB1_84 Depth=1
	s_add_u32 s8, s36, 0x1000
	s_addc_u32 s9, s37, 0
	s_mov_b64 s[4:5], s[38:39]
	s_mov_b64 s[10:11], s[34:35]
	s_mov_b32 s12, s45
	s_mov_b32 s13, s44
	;; [unrolled: 1-line block ×3, first 2 shown]
	v_mov_b32_e32 v31, v40
	s_getpc_b64 s[6:7]
	s_add_u32 s6, s6, _Z42ncclDevFunc_Broadcast_RING_LL_Sum_i8_0_0_2v@rel32@lo+4
	s_addc_u32 s7, s7, _Z42ncclDevFunc_Broadcast_RING_LL_Sum_i8_0_0_2v@rel32@hi+12
	s_swappc_b64 s[30:31], s[6:7]
.LBB1_570:                              ;   in Loop: Header=BB1_84 Depth=1
	ds_read_b32 v0, v42 offset:16996
	s_waitcnt lgkmcnt(0)
	v_cmp_eq_u32_e32 vcc, -1, v0
	v_readfirstlane_b32 s12, v0
	s_cbranch_vccnz .LBB1_585
; %bb.571:                              ;   in Loop: Header=BB1_84 Depth=1
	s_barrier
	s_and_saveexec_b64 s[4:5], s[46:47]
	s_cbranch_execz .LBB1_575
; %bb.572:                              ;   in Loop: Header=BB1_84 Depth=1
	s_and_saveexec_b64 s[6:7], s[42:43]
	s_cbranch_execz .LBB1_574
; %bb.573:                              ;   in Loop: Header=BB1_84 Depth=1
	v_mov_b32_e32 v43, v42
	ds_write_b64 v42, v[42:43] offset:19736
.LBB1_574:                              ;   in Loop: Header=BB1_84 Depth=1
	s_or_b64 exec, exec, s[6:7]
	v_mov_b32_e32 v43, v42
	ds_write_b64 v41, v[42:43]
.LBB1_575:                              ;   in Loop: Header=BB1_84 Depth=1
	s_or_b64 exec, exec, s[4:5]
	s_and_saveexec_b64 s[4:5], s[40:41]
	s_cbranch_execz .LBB1_587
; %bb.576:                              ;   in Loop: Header=BB1_84 Depth=1
	ds_read_b64 v[2:3], v42 offset:16976
	ds_read_b32 v6, v42 offset:17004
	s_waitcnt lgkmcnt(0)
	v_add_co_u32_e32 v0, vcc, 1, v2
	v_addc_co_u32_e32 v1, vcc, 0, v3, vcc
	v_ashrrev_i32_e32 v5, 31, v6
	v_add_co_u32_e32 v4, vcc, v2, v6
	v_addc_co_u32_e32 v5, vcc, v3, v5, vcc
	v_cmp_gt_u64_e32 vcc, v[0:1], v[4:5]
	s_cbranch_vccnz .LBB1_586
; %bb.577:                              ;   in Loop: Header=BB1_84 Depth=1
	ds_read_u8 v7, v42 offset:17000
	s_movk_i32 s8, 0x494e
	s_movk_i32 s9, 0x491a
	s_branch .LBB1_579
.LBB1_578:                              ;   in Loop: Header=BB1_579 Depth=2
	v_add_co_u32_e32 v0, vcc, 1, v0
	v_addc_co_u32_e32 v1, vcc, 0, v1, vcc
	s_waitcnt lgkmcnt(0)
	v_ashrrev_i32_e32 v5, 31, v6
	v_add_co_u32_e32 v4, vcc, v2, v6
	v_addc_co_u32_e32 v5, vcc, v3, v5, vcc
	v_cmp_le_u64_e32 vcc, v[0:1], v[4:5]
	s_add_i32 s8, s8, 64
	s_addk_i32 s9, 0x80
	s_cbranch_vccz .LBB1_586
.LBB1_579:                              ;   Parent Loop BB1_84 Depth=1
                                        ; =>  This Inner Loop Header: Depth=2
	s_waitcnt lgkmcnt(0)
	v_cmp_ne_u16_sdwa s[6:7], v7, v42 src0_sel:BYTE_0 src1_sel:DWORD
	s_and_b64 vcc, exec, s[6:7]
	s_cbranch_vccz .LBB1_584
; %bb.580:                              ;   in Loop: Header=BB1_579 Depth=2
	v_mov_b32_e32 v4, s9
	ds_read_u8 v4, v4
	s_waitcnt lgkmcnt(0)
	v_and_b32_e32 v4, 1, v4
	s_cbranch_execnz .LBB1_582
.LBB1_581:                              ;   in Loop: Header=BB1_579 Depth=2
	v_mov_b32_e32 v4, s8
	ds_read_u16 v4, v4
	s_waitcnt lgkmcnt(0)
	v_bfe_u32 v4, v4, 6, 1
.LBB1_582:                              ;   in Loop: Header=BB1_579 Depth=2
	v_cmp_eq_u32_e32 vcc, 0, v4
	s_cbranch_vccnz .LBB1_578
; %bb.583:                              ;   in Loop: Header=BB1_579 Depth=2
	s_memrealtime s[6:7]
	ds_read_u8 v7, v42 offset:17000
	ds_read_b32 v2, v42 offset:16496
	ds_read_b64 v[4:5], v42 offset:16600
	s_waitcnt lgkmcnt(0)
	v_ashrrev_i32_e32 v3, 31, v2
	v_lshlrev_b64 v[2:3], 10, v[2:3]
	v_add_co_u32_e32 v2, vcc, v4, v2
	v_and_b32_e32 v4, 63, v0
	v_addc_co_u32_e32 v3, vcc, v5, v3, vcc
	v_lshlrev_b32_e32 v4, 4, v4
	v_add_co_u32_e32 v4, vcc, v2, v4
	v_addc_co_u32_e32 v5, vcc, 0, v3, vcc
	v_mov_b32_e32 v2, s6
	v_mov_b32_e32 v3, s7
	flat_store_dwordx4 v[4:5], v[0:3]
	ds_read_b64 v[2:3], v42 offset:16976
	ds_read_b32 v6, v42 offset:17004
	s_branch .LBB1_578
.LBB1_584:                              ;   in Loop: Header=BB1_579 Depth=2
                                        ; implicit-def: $vgpr4
	s_branch .LBB1_581
.LBB1_585:                              ;   in Loop: Header=BB1_84 Depth=1
	s_cbranch_execz .LBB1_84
	s_branch .LBB1_70
.LBB1_586:                              ;   in Loop: Header=BB1_84 Depth=1
	ds_write_b64 v42, v[4:5] offset:16976
.LBB1_587:                              ;   in Loop: Header=BB1_84 Depth=1
	s_or_b64 exec, exec, s[4:5]
	s_mov_b32 s14, 0
	v_mov_b32_e32 v9, v46
                                        ; implicit-def: $vgpr0_vgpr1_vgpr2_vgpr3
	s_branch .LBB1_590
.LBB1_588:                              ;   in Loop: Header=BB1_590 Depth=2
	s_or_b64 exec, exec, s[10:11]
	s_mov_b32 s9, s12
	v_mov_b32_e32 v4, v9
.LBB1_589:                              ;   in Loop: Header=BB1_590 Depth=2
	s_andn2_b64 vcc, exec, s[6:7]
	s_mov_b32 s12, s9
	v_mov_b32_e32 v9, v4
	s_cbranch_vccz .LBB1_83
.LBB1_590:                              ;   Parent Loop BB1_84 Depth=1
                                        ; =>  This Inner Loop Header: Depth=2
	s_ashr_i32 s13, s12, 31
	s_lshl_b64 s[4:5], s[12:13], 4
	s_add_u32 s4, s49, s4
	s_addc_u32 s5, s50, s5
	s_load_dwordx4 s[8:11], s[4:5], 0x0
	s_waitcnt lgkmcnt(0)
	v_and_b32_e32 v5, s11, v45
	v_and_b32_e32 v4, s10, v44
	v_cmp_ne_u64_e32 vcc, 0, v[4:5]
	s_and_saveexec_b64 s[4:5], vcc
	s_cbranch_execz .LBB1_592
; %bb.591:                              ;   in Loop: Header=BB1_590 Depth=2
	v_and_b32_e32 v5, s10, v56
	v_and_b32_e32 v4, s11, v57
	v_bcnt_u32_b32 v5, v5, 0
	v_bcnt_u32_b32 v4, v4, v5
	v_add_u32_e32 v4, v47, v4
	ds_write_b8 v4, v46
.LBB1_592:                              ;   in Loop: Header=BB1_590 Depth=2
	s_or_b64 exec, exec, s[4:5]
	s_bcnt1_i32_b64 s15, s[10:11]
	s_bfe_u32 s13, s8, 0x2000f
	s_cmp_lt_i32 s13, 1
	s_cbranch_scc1 .LBB1_595
; %bb.593:                              ;   in Loop: Header=BB1_590 Depth=2
	s_cmp_lg_u32 s13, 1
	s_cbranch_scc0 .LBB1_596
; %bb.594:                              ;   in Loop: Header=BB1_590 Depth=2
	s_mov_b32 s17, 20
	v_mul_u32_u24_e64 v4, s15, 20
	s_movk_i32 s16, 0x140
	s_cbranch_execz .LBB1_597
	s_branch .LBB1_598
.LBB1_595:                              ;   in Loop: Header=BB1_590 Depth=2
                                        ; implicit-def: $vgpr4
                                        ; implicit-def: $sgpr16
                                        ; implicit-def: $sgpr17
	s_branch .LBB1_599
.LBB1_596:                              ;   in Loop: Header=BB1_590 Depth=2
                                        ; implicit-def: $vgpr4
                                        ; implicit-def: $sgpr16
                                        ; implicit-def: $sgpr17
.LBB1_597:                              ;   in Loop: Header=BB1_590 Depth=2
	s_lshl_b32 s4, s15, 3
	s_mov_b32 s17, 8
	s_movk_i32 s16, 0x80
	v_mov_b32_e32 v4, s4
.LBB1_598:                              ;   in Loop: Header=BB1_590 Depth=2
	s_cbranch_execnz .LBB1_600
.LBB1_599:                              ;   in Loop: Header=BB1_590 Depth=2
	s_lshl_b32 s4, s15, 2
	s_mov_b32 s16, 64
	s_mov_b32 s17, 4
	v_mov_b32_e32 v4, s4
.LBB1_600:                              ;   in Loop: Header=BB1_590 Depth=2
	v_cmp_eq_u32_e64 s[4:5], 0, v9
	s_and_saveexec_b64 s[6:7], s[4:5]
	s_cbranch_execz .LBB1_602
; %bb.601:                              ;   in Loop: Header=BB1_590 Depth=2
	v_mov_b32_e32 v5, s16
	ds_write_b32 v42, v5 offset:17008
	s_or_b64 exec, exec, s[6:7]
	v_cmp_lt_i32_e32 vcc, v9, v4
	s_and_saveexec_b64 s[10:11], vcc
	s_cbranch_execz .LBB1_610
	s_branch .LBB1_603
.LBB1_602:                              ;   in Loop: Header=BB1_590 Depth=2
	s_or_b64 exec, exec, s[6:7]
	v_cmp_lt_i32_e32 vcc, v9, v4
	s_and_saveexec_b64 s[10:11], vcc
	s_cbranch_execz .LBB1_610
.LBB1_603:                              ;   in Loop: Header=BB1_590 Depth=2
	v_cvt_f32_u32_e32 v4, s17
	s_sub_i32 s6, 0, s17
	v_sub_u32_e32 v6, 0, v9
	v_max_i32_e32 v6, v9, v6
	v_rcp_iflag_f32_e32 v4, v4
	v_ashrrev_i32_e32 v5, 31, v9
	v_mul_f32_e32 v4, 0x4f7ffffe, v4
	v_cvt_u32_f32_e32 v4, v4
	v_mul_lo_u32 v7, s6, v4
	v_mul_hi_u32 v7, v4, v7
	v_add_u32_e32 v4, v4, v7
	v_mul_hi_u32 v4, v6, v4
	v_mul_lo_u32 v7, v4, s17
	v_sub_u32_e32 v6, v6, v7
	v_add_u32_e32 v8, 1, v4
	v_cmp_le_u32_e32 vcc, s17, v6
	v_subrev_u32_e32 v7, s17, v6
	v_cndmask_b32_e32 v4, v4, v8, vcc
	v_cndmask_b32_e32 v6, v6, v7, vcc
	v_add_u32_e32 v7, 1, v4
	v_cmp_le_u32_e32 vcc, s17, v6
	v_cndmask_b32_e32 v4, v4, v7, vcc
	v_xor_b32_e32 v4, v4, v5
	v_sub_u32_e32 v10, v4, v5
	ds_read_u8 v6, v42 offset:16472
	v_add_u32_e32 v4, v47, v10
	ds_read_u8 v4, v4
	v_mul_lo_u32 v5, v10, s17
	v_sub_u32_e32 v5, v9, v5
	s_waitcnt lgkmcnt(0)
	v_cmp_ne_u16_e64 s[6:7], 0, v6
	s_and_b64 vcc, exec, s[6:7]
	v_lshlrev_b32_e32 v11, 4, v5
	s_cbranch_vccz .LBB1_606
; %bb.604:                              ;   in Loop: Header=BB1_590 Depth=2
	s_and_b64 vcc, exec, s[6:7]
	s_cbranch_vccz .LBB1_607
.LBB1_605:                              ;   in Loop: Header=BB1_590 Depth=2
	ds_read_b32 v12, v42 offset:16476
	ds_read_b64 v[6:7], v42 offset:16480
	v_mul_u32_u24_e32 v4, s16, v4
	v_lshlrev_b32_e32 v8, 4, v5
	v_add3_u32 v4, v8, s9, v4
	s_waitcnt lgkmcnt(0)
	v_and_b32_e32 v4, v12, v4
	v_add_co_u32_e32 v4, vcc, v6, v4
	v_addc_co_u32_e32 v5, vcc, 0, v7, vcc
	flat_load_dwordx4 v[4:7], v[4:5]
	s_cbranch_execz .LBB1_608
	s_branch .LBB1_609
.LBB1_606:                              ;   in Loop: Header=BB1_590 Depth=2
	v_lshlrev_b32_e32 v0, 4, v5
	v_mul_u32_u24_e32 v1, s16, v4
	v_add3_u32 v0, v0, s9, v1
	global_load_dwordx4 v[0:3], v0, s[36:37]
	s_and_b64 vcc, exec, s[6:7]
	s_cbranch_vccnz .LBB1_605
.LBB1_607:                              ;   in Loop: Header=BB1_590 Depth=2
                                        ; implicit-def: $vgpr4_vgpr5_vgpr6_vgpr7
                                        ; implicit-def: $vgpr8
.LBB1_608:                              ;   in Loop: Header=BB1_590 Depth=2
	s_waitcnt vmcnt(0) lgkmcnt(0)
	v_pk_mov_b32 v[6:7], v[2:3], v[2:3] op_sel:[0,1]
	v_mov_b32_e32 v8, v11
	v_pk_mov_b32 v[4:5], v[0:1], v[0:1] op_sel:[0,1]
.LBB1_609:                              ;   in Loop: Header=BB1_590 Depth=2
	s_waitcnt vmcnt(0)
	v_add_u32_e32 v0, s14, v10
	v_mad_u64_u32 v[0:1], s[6:7], v0, s16, v[8:9]
	s_waitcnt lgkmcnt(0)
	ds_write_b128 v0, v[4:7] offset:18704
	v_pk_mov_b32 v[0:1], v[4:5], v[4:5] op_sel:[0,1]
	v_pk_mov_b32 v[2:3], v[6:7], v[6:7] op_sel:[0,1]
.LBB1_610:                              ;   in Loop: Header=BB1_590 Depth=2
	s_or_b64 exec, exec, s[10:11]
	s_bitcmp0_b32 s8, 14
	s_cselect_b64 s[6:7], -1, 0
	s_and_b64 vcc, exec, s[6:7]
	s_cbranch_vccnz .LBB1_612
; %bb.611:                              ;   in Loop: Header=BB1_590 Depth=2
	v_mov_b32_e32 v4, s48
	v_cmp_gt_i32_e32 vcc, 64, v9
	s_and_b32 s9, s8, 0x3fff
	v_cndmask_b32_e32 v4, 0, v4, vcc
	s_add_i32 s9, s9, s12
	v_add3_u32 v4, v9, v4, s52
	s_add_i32 s14, s14, s15
	s_cbranch_execnz .LBB1_589
	s_branch .LBB1_613
.LBB1_612:                              ;   in Loop: Header=BB1_590 Depth=2
                                        ; implicit-def: $vgpr4
                                        ; implicit-def: $sgpr9
	s_add_i32 s14, s14, s15
.LBB1_613:                              ;   in Loop: Header=BB1_590 Depth=2
	s_and_saveexec_b64 s[10:11], s[4:5]
	s_cbranch_execz .LBB1_588
; %bb.614:                              ;   in Loop: Header=BB1_590 Depth=2
	s_and_b32 s4, s8, 0x3fff
	s_add_i32 s5, s4, s12
	s_cmp_lg_u32 s4, 0
	s_cselect_b32 s4, s5, -1
	v_mov_b32_e32 v4, s12
	v_mov_b32_e32 v5, s4
	ds_write_b64 v42, v[4:5] offset:16992
	v_mov_b32_e32 v4, s13
	ds_write_b8 v42, v4 offset:17000
	v_mov_b32_e32 v4, s14
	s_lshr_b32 s4, s8, 17
	ds_write_b32 v42, v4 offset:17004
	v_mov_b32_e32 v4, s4
	v_mov_b32_e32 v9, 0
	ds_write_b16 v42, v4 offset:17002
	s_branch .LBB1_588
	.section	.rodata,"a",@progbits
	.p2align	6, 0x0
	.amdhsa_kernel _Z23ncclDevKernel_Generic_224ncclDevKernelArgsStorageILm4096EE
		.amdhsa_group_segment_fixed_size 19744
		.amdhsa_private_segment_fixed_size 0
		.amdhsa_kernarg_size 4352
		.amdhsa_user_sgpr_count 12
		.amdhsa_user_sgpr_private_segment_buffer 1
		.amdhsa_user_sgpr_dispatch_ptr 1
		.amdhsa_user_sgpr_queue_ptr 0
		.amdhsa_user_sgpr_kernarg_segment_ptr 1
		.amdhsa_user_sgpr_dispatch_id 1
		.amdhsa_user_sgpr_flat_scratch_init 1
		.amdhsa_user_sgpr_kernarg_preload_length 0
		.amdhsa_user_sgpr_kernarg_preload_offset 0
		.amdhsa_user_sgpr_private_segment_size 0
		.amdhsa_uses_dynamic_stack 1
		.amdhsa_system_sgpr_private_segment_wavefront_offset 1
		.amdhsa_system_sgpr_workgroup_id_x 1
		.amdhsa_system_sgpr_workgroup_id_y 1
		.amdhsa_system_sgpr_workgroup_id_z 1
		.amdhsa_system_sgpr_workgroup_info 0
		.amdhsa_system_vgpr_workitem_id 2
		.amdhsa_next_free_vgpr 73
		.amdhsa_next_free_sgpr 54
		.amdhsa_accum_offset 76
		.amdhsa_reserve_vcc 1
		.amdhsa_reserve_flat_scratch 1
		.amdhsa_float_round_mode_32 0
		.amdhsa_float_round_mode_16_64 0
		.amdhsa_float_denorm_mode_32 3
		.amdhsa_float_denorm_mode_16_64 3
		.amdhsa_dx10_clamp 1
		.amdhsa_ieee_mode 1
		.amdhsa_fp16_overflow 0
		.amdhsa_tg_split 0
		.amdhsa_exception_fp_ieee_invalid_op 0
		.amdhsa_exception_fp_denorm_src 0
		.amdhsa_exception_fp_ieee_div_zero 0
		.amdhsa_exception_fp_ieee_overflow 0
		.amdhsa_exception_fp_ieee_underflow 0
		.amdhsa_exception_fp_ieee_inexact 0
		.amdhsa_exception_int_div_zero 0
	.end_amdhsa_kernel
	.text
.Lfunc_end1:
	.size	_Z23ncclDevKernel_Generic_224ncclDevKernelArgsStorageILm4096EE, .Lfunc_end1-_Z23ncclDevKernel_Generic_224ncclDevKernelArgsStorageILm4096EE
                                        ; -- End function
	.section	.AMDGPU.csdata,"",@progbits
; Kernel info:
; codeLenInByte = 15172
; NumSgprs: 60
; NumVgprs: 73
; NumAgprs: 0
; TotalNumVgprs: 73
; ScratchSize: 0
; MemoryBound: 1
; FloatMode: 240
; IeeeMode: 1
; LDSByteSize: 19744 bytes/workgroup (compile time only)
; SGPRBlocks: 7
; VGPRBlocks: 9
; NumSGPRsForWavesPerEU: 60
; NumVGPRsForWavesPerEU: 73
; AccumOffset: 76
; Occupancy: 3
; WaveLimiterHint : 0
; COMPUTE_PGM_RSRC2:SCRATCH_EN: 1
; COMPUTE_PGM_RSRC2:USER_SGPR: 12
; COMPUTE_PGM_RSRC2:TRAP_HANDLER: 0
; COMPUTE_PGM_RSRC2:TGID_X_EN: 1
; COMPUTE_PGM_RSRC2:TGID_Y_EN: 1
; COMPUTE_PGM_RSRC2:TGID_Z_EN: 1
; COMPUTE_PGM_RSRC2:TIDIG_COMP_CNT: 2
; COMPUTE_PGM_RSRC3_GFX90A:ACCUM_OFFSET: 18
; COMPUTE_PGM_RSRC3_GFX90A:TG_SPLIT: 0
	.text
	.protected	_Z23ncclDevKernel_Generic_424ncclDevKernelArgsStorageILm4096EE ; -- Begin function _Z23ncclDevKernel_Generic_424ncclDevKernelArgsStorageILm4096EE
	.globl	_Z23ncclDevKernel_Generic_424ncclDevKernelArgsStorageILm4096EE
	.p2align	8
	.type	_Z23ncclDevKernel_Generic_424ncclDevKernelArgsStorageILm4096EE,@function
_Z23ncclDevKernel_Generic_424ncclDevKernelArgsStorageILm4096EE: ; @_Z23ncclDevKernel_Generic_424ncclDevKernelArgsStorageILm4096EE
; %bb.0:
	s_add_u32 flat_scratch_lo, s10, s15
	s_addc_u32 flat_scratch_hi, s11, 0
	v_mov_b32_e32 v40, v0
	s_add_u32 s0, s0, s15
	v_and_b32_e32 v11, 0x3ff, v40
	s_addc_u32 s1, s1, 0
	s_mov_b32 s33, s14
	s_mov_b32 s44, s13
	;; [unrolled: 1-line block ×3, first 2 shown]
	s_mov_b64 s[34:35], s[8:9]
	s_mov_b64 s[36:37], s[6:7]
	;; [unrolled: 1-line block ×3, first 2 shown]
	v_cmp_gt_u32_e32 vcc, 12, v11
	s_mov_b32 s32, 0
	s_and_saveexec_b64 s[4:5], vcc
	s_cbranch_execz .LBB2_2
; %bb.1:
	v_lshlrev_b32_e32 v0, 2, v11
	global_load_dword v1, v0, s[36:37]
	s_waitcnt vmcnt(0)
	ds_write_b32 v0, v1 offset:16448
.LBB2_2:
	s_or_b64 exec, exec, s[4:5]
	s_load_dword s18, s[36:37], 0x100c
	v_lshrrev_b32_e32 v12, 6, v11
	v_cmp_lt_i32_e32 vcc, 0, v12
	s_and_saveexec_b64 s[4:5], vcc
	s_xor_b64 s[4:5], exec, s[4:5]
	s_cbranch_execz .LBB2_16
; %bb.3:
	v_cmp_lt_i32_e32 vcc, 2, v12
	s_and_saveexec_b64 s[6:7], vcc
	s_xor_b64 s[6:7], exec, s[6:7]
	s_cbranch_execz .LBB2_8
; %bb.4:
	v_cmp_eq_u32_e32 vcc, 3, v12
	s_and_saveexec_b64 s[8:9], vcc
	s_cbranch_execz .LBB2_7
; %bb.5:
	s_movk_i32 s10, 0xc0
	v_cmp_eq_u32_e32 vcc, s10, v11
	s_and_b64 exec, exec, vcc
	s_cbranch_execz .LBB2_7
; %bb.6:
	v_mov_b32_e32 v0, 0
	ds_write_b32 v0, v0 offset:16500
.LBB2_7:
	s_or_b64 exec, exec, s[8:9]
.LBB2_8:
	s_andn2_saveexec_b64 s[6:7], s[6:7]
	s_cbranch_execz .LBB2_15
; %bb.9:
	v_cmp_eq_u32_e32 vcc, 1, v12
	s_and_saveexec_b64 s[8:9], vcc
	s_cbranch_execz .LBB2_14
; %bb.10:
	s_movk_i32 s10, 0x44
	v_cmp_gt_u32_e32 vcc, s10, v11
	s_and_b64 exec, exec, vcc
	s_cbranch_execz .LBB2_14
; %bb.11:
	v_cmp_eq_u32_e32 vcc, 64, v11
	s_and_saveexec_b64 s[10:11], vcc
	s_cbranch_execz .LBB2_13
; %bb.12:
	v_mov_b32_e32 v0, 0
	v_mov_b32_e32 v1, v0
	ds_write_b64 v0, v[0:1] offset:19736
.LBB2_13:
	s_or_b64 exec, exec, s[10:11]
	s_movk_i32 s10, 0x160
	v_mov_b32_e32 v0, 0xffffeb98
	v_mad_u32_u24 v2, v11, s10, v0
	v_mov_b32_e32 v0, 0
	v_mov_b32_e32 v1, v0
	ds_write_b64 v2, v[0:1]
.LBB2_14:
	s_or_b64 exec, exec, s[8:9]
.LBB2_15:
	s_or_b64 exec, exec, s[6:7]
.LBB2_16:
	s_andn2_saveexec_b64 s[4:5], s[4:5]
	s_cbranch_execz .LBB2_22
; %bb.17:
	s_load_dwordx2 s[8:9], s[36:37], 0x8
	v_lshlrev_b64 v[0:1], v11, 1
	v_add_co_u32_e32 v2, vcc, -1, v0
	v_addc_co_u32_e32 v3, vcc, -1, v1, vcc
	s_waitcnt lgkmcnt(0)
	v_and_b32_e32 v5, s9, v1
	v_and_b32_e32 v4, s8, v0
	s_mov_b64 s[6:7], 0
	v_cmp_eq_u64_e64 s[12:13], 0, v[4:5]
	v_cmp_ne_u64_e32 vcc, 0, v[4:5]
                                        ; implicit-def: $sgpr14
	s_and_saveexec_b64 s[10:11], vcc
	s_cbranch_execz .LBB2_58
; %bb.18:
	v_and_b32_e32 v5, s8, v2
	v_and_b32_e32 v4, s9, v3
	v_bcnt_u32_b32 v5, v5, 0
	v_bcnt_u32_b32 v4, v4, v5
	v_cmp_ne_u32_e32 vcc, s45, v4
	s_andn2_b64 s[12:13], s[12:13], exec
	s_and_b64 s[16:17], vcc, exec
	s_mov_b64 s[6:7], exec
	s_mov_b32 s14, 0
	s_or_b64 s[12:13], s[12:13], s[16:17]
	s_or_b64 exec, exec, s[10:11]
	v_mov_b32_e32 v4, s14
	s_and_saveexec_b64 s[10:11], s[12:13]
	s_cbranch_execnz .LBB2_59
.LBB2_19:
	s_or_b64 exec, exec, s[10:11]
	s_and_saveexec_b64 s[8:9], s[6:7]
	s_cbranch_execz .LBB2_21
.LBB2_20:
	v_add_u32_e32 v0, v4, v11
	v_mov_b32_e32 v1, 0
	ds_write_b32 v1, v0 offset:16496
.LBB2_21:
	s_or_b64 exec, exec, s[8:9]
.LBB2_22:
	s_or_b64 exec, exec, s[4:5]
	v_cmp_eq_u32_e64 s[40:41], 0, v11
	s_waitcnt lgkmcnt(0)
	s_barrier
	s_and_saveexec_b64 s[4:5], s[40:41]
	s_cbranch_execz .LBB2_24
; %bb.23:
	v_mov_b32_e32 v2, 0
	ds_read_b32 v3, v2 offset:16496
	ds_read_b64 v[0:1], v2 offset:16448
	s_movk_i32 s6, 0x180
	s_waitcnt lgkmcnt(1)
	v_mul_hi_i32 v4, v3, s6
	v_mul_lo_u32 v3, v3, s6
	s_waitcnt lgkmcnt(0)
	v_add_co_u32_e32 v0, vcc, v0, v3
	v_addc_co_u32_e32 v1, vcc, v1, v4, vcc
	flat_load_dwordx2 v[0:1], v[0:1] offset:464
	ds_write_b32 v2, v2 offset:16500
	s_waitcnt vmcnt(0) lgkmcnt(0)
	ds_write_b64 v2, v[0:1] offset:16976
.LBB2_24:
	s_or_b64 exec, exec, s[4:5]
	s_and_b32 s48, 0xffff, s18
	v_cmp_lt_i32_e32 vcc, 0, v12
	s_mov_b64 s[4:5], 0
                                        ; implicit-def: $vgpr0_vgpr1
                                        ; implicit-def: $vgpr2
	s_and_saveexec_b64 s[6:7], vcc
	s_xor_b64 s[8:9], exec, s[6:7]
	s_cbranch_execz .LBB2_54
; %bb.25:
	v_cmp_ne_u32_e32 vcc, 1, v12
	s_and_saveexec_b64 s[4:5], vcc
	s_xor_b64 s[10:11], exec, s[4:5]
	s_cbranch_execz .LBB2_62
; %bb.26:
	v_add_u32_e32 v18, 0xffffff80, v11
	v_ashrrev_i16_e32 v0, 15, v18
	v_lshrrev_b16_e32 v0, 10, v0
	v_add_u16_e32 v0, v18, v0
	v_and_b32_e32 v0, 0xffffffc0, v0
	v_sub_u16_e32 v13, v18, v0
	v_bfe_i32 v0, v13, 0, 16
	s_add_i32 s18, s48, 0xffffff80
	v_lshlrev_b64 v[8:9], v0, 1
	v_add_co_u32_e32 v15, vcc, -1, v8
	s_add_u32 s20, s36, 48
	s_movk_i32 s19, 0xffc0
	v_mul_u32_u24_e32 v14, 0x1010, v12
	v_addc_co_u32_e32 v16, vcc, -1, v9, vcc
	s_addc_u32 s21, s37, 0
	s_mov_b32 s22, 0
	v_mov_b32_e32 v17, 0
	s_mov_b32 s12, s45
                                        ; implicit-def: $vgpr0_vgpr1_vgpr2_vgpr3
	s_branch .LBB2_29
.LBB2_27:                               ;   in Loop: Header=BB2_29 Depth=1
	s_or_b64 exec, exec, s[16:17]
	s_mov_b32 s15, s12
	v_mov_b32_e32 v4, v18
.LBB2_28:                               ;   in Loop: Header=BB2_29 Depth=1
	s_and_b64 vcc, exec, s[6:7]
	s_mov_b32 s12, s15
	v_mov_b32_e32 v18, v4
	s_cbranch_vccnz .LBB2_62
.LBB2_29:                               ; =>This Inner Loop Header: Depth=1
	s_ashr_i32 s13, s12, 31
	s_lshl_b64 s[4:5], s[12:13], 4
	s_add_u32 s4, s20, s4
	s_addc_u32 s5, s21, s5
	s_load_dwordx2 s[6:7], s[4:5], 0x8
	s_waitcnt lgkmcnt(0)
	v_and_b32_e32 v5, s7, v9
	v_and_b32_e32 v4, s6, v8
	v_cmp_ne_u64_e32 vcc, 0, v[4:5]
	s_and_saveexec_b64 s[14:15], vcc
	s_cbranch_execz .LBB2_31
; %bb.30:                               ;   in Loop: Header=BB2_29 Depth=1
	v_and_b32_e32 v5, s6, v15
	v_and_b32_e32 v4, s7, v16
	v_bcnt_u32_b32 v5, v5, 0
	v_bcnt_u32_b32 v4, v4, v5
	v_add_u32_e32 v4, v14, v4
	ds_write_b8 v4, v13
.LBB2_31:                               ;   in Loop: Header=BB2_29 Depth=1
	s_or_b64 exec, exec, s[14:15]
	s_load_dwordx2 s[14:15], s[4:5], 0x0
	s_bcnt1_i32_b64 s23, s[6:7]
	s_waitcnt lgkmcnt(0)
	s_bfe_u32 s13, s14, 0x2000f
	s_cmp_lt_i32 s13, 1
	s_cbranch_scc1 .LBB2_34
; %bb.32:                               ;   in Loop: Header=BB2_29 Depth=1
	s_cmp_lg_u32 s13, 1
	s_cbranch_scc0 .LBB2_35
; %bb.33:                               ;   in Loop: Header=BB2_29 Depth=1
	s_mov_b32 s25, 20
	v_mul_u32_u24_e64 v4, s23, 20
	s_movk_i32 s24, 0x140
	s_cbranch_execz .LBB2_36
	s_branch .LBB2_37
.LBB2_34:                               ;   in Loop: Header=BB2_29 Depth=1
                                        ; implicit-def: $vgpr4
                                        ; implicit-def: $sgpr24
                                        ; implicit-def: $sgpr25
	s_branch .LBB2_38
.LBB2_35:                               ;   in Loop: Header=BB2_29 Depth=1
                                        ; implicit-def: $vgpr4
                                        ; implicit-def: $sgpr24
                                        ; implicit-def: $sgpr25
.LBB2_36:                               ;   in Loop: Header=BB2_29 Depth=1
	s_lshl_b32 s4, s23, 3
	s_mov_b32 s25, 8
	s_movk_i32 s24, 0x80
	v_mov_b32_e32 v4, s4
.LBB2_37:                               ;   in Loop: Header=BB2_29 Depth=1
	s_cbranch_execnz .LBB2_39
.LBB2_38:                               ;   in Loop: Header=BB2_29 Depth=1
	s_lshl_b32 s4, s23, 2
	s_mov_b32 s24, 64
	s_mov_b32 s25, 4
	v_mov_b32_e32 v4, s4
.LBB2_39:                               ;   in Loop: Header=BB2_29 Depth=1
	v_cmp_eq_u32_e64 s[4:5], 0, v18
	s_and_saveexec_b64 s[6:7], s[4:5]
	s_cbranch_execz .LBB2_41
; %bb.40:                               ;   in Loop: Header=BB2_29 Depth=1
	v_mov_b32_e32 v5, s24
	ds_write_b32 v17, v5 offset:17008
	s_or_b64 exec, exec, s[6:7]
	v_cmp_lt_i32_e32 vcc, v18, v4
	s_and_saveexec_b64 s[16:17], vcc
	s_cbranch_execz .LBB2_49
	s_branch .LBB2_42
.LBB2_41:                               ;   in Loop: Header=BB2_29 Depth=1
	s_or_b64 exec, exec, s[6:7]
	v_cmp_lt_i32_e32 vcc, v18, v4
	s_and_saveexec_b64 s[16:17], vcc
	s_cbranch_execz .LBB2_49
.LBB2_42:                               ;   in Loop: Header=BB2_29 Depth=1
	v_cvt_f32_u32_e32 v4, s25
	s_sub_i32 s6, 0, s25
	v_sub_u32_e32 v6, 0, v18
	v_max_i32_e32 v6, v18, v6
	v_rcp_iflag_f32_e32 v4, v4
	v_ashrrev_i32_e32 v5, 31, v18
	v_mul_f32_e32 v4, 0x4f7ffffe, v4
	v_cvt_u32_f32_e32 v4, v4
	v_mul_lo_u32 v7, s6, v4
	v_mul_hi_u32 v7, v4, v7
	v_add_u32_e32 v4, v4, v7
	v_mul_hi_u32 v4, v6, v4
	v_mul_lo_u32 v7, v4, s25
	v_sub_u32_e32 v6, v6, v7
	v_add_u32_e32 v10, 1, v4
	v_cmp_le_u32_e32 vcc, s25, v6
	v_subrev_u32_e32 v7, s25, v6
	v_cndmask_b32_e32 v4, v4, v10, vcc
	v_cndmask_b32_e32 v6, v6, v7, vcc
	v_add_u32_e32 v7, 1, v4
	v_cmp_le_u32_e32 vcc, s25, v6
	v_cndmask_b32_e32 v4, v4, v7, vcc
	v_xor_b32_e32 v4, v4, v5
	v_sub_u32_e32 v19, v4, v5
	ds_read_u8 v5, v17 offset:16472
	v_add_u32_e32 v4, v14, v19
	ds_read_u8 v4, v4
	v_mul_lo_u32 v6, v19, s25
	v_sub_u32_e32 v20, v18, v6
	s_waitcnt lgkmcnt(1)
	v_cmp_ne_u16_e64 s[6:7], 0, v5
	s_and_b64 vcc, exec, s[6:7]
	s_cbranch_vccz .LBB2_45
; %bb.43:                               ;   in Loop: Header=BB2_29 Depth=1
	s_and_b64 vcc, exec, s[6:7]
	s_cbranch_vccz .LBB2_46
.LBB2_44:                               ;   in Loop: Header=BB2_29 Depth=1
	ds_read_b32 v5, v17 offset:16476
	ds_read_b64 v[6:7], v17 offset:16480
	s_waitcnt lgkmcnt(2)
	v_mul_u32_u24_e32 v4, s24, v4
	v_lshlrev_b32_e32 v10, 4, v20
	v_add3_u32 v4, v10, s15, v4
	s_waitcnt lgkmcnt(1)
	v_and_b32_e32 v4, v5, v4
	s_waitcnt lgkmcnt(0)
	v_add_co_u32_e32 v4, vcc, v6, v4
	v_addc_co_u32_e32 v5, vcc, 0, v7, vcc
	flat_load_dwordx4 v[4:7], v[4:5]
	s_cbranch_execz .LBB2_47
	s_branch .LBB2_48
.LBB2_45:                               ;   in Loop: Header=BB2_29 Depth=1
	v_lshlrev_b32_e32 v0, 4, v20
	s_waitcnt lgkmcnt(0)
	v_mul_u32_u24_e32 v1, s24, v4
	v_add3_u32 v0, v0, s15, v1
	global_load_dwordx4 v[0:3], v0, s[36:37]
	s_and_b64 vcc, exec, s[6:7]
	s_cbranch_vccnz .LBB2_44
.LBB2_46:                               ;   in Loop: Header=BB2_29 Depth=1
                                        ; implicit-def: $vgpr4_vgpr5_vgpr6_vgpr7
                                        ; implicit-def: $vgpr10
.LBB2_47:                               ;   in Loop: Header=BB2_29 Depth=1
	s_waitcnt vmcnt(0) lgkmcnt(0)
	v_pk_mov_b32 v[6:7], v[2:3], v[2:3] op_sel:[0,1]
	v_lshlrev_b32_e32 v10, 4, v20
	v_pk_mov_b32 v[4:5], v[0:1], v[0:1] op_sel:[0,1]
.LBB2_48:                               ;   in Loop: Header=BB2_29 Depth=1
	s_waitcnt vmcnt(0)
	v_add_u32_e32 v0, s22, v19
	v_mad_u64_u32 v[0:1], s[6:7], v0, s24, v[10:11]
	s_waitcnt lgkmcnt(0)
	ds_write_b128 v0, v[4:7] offset:18704
	v_pk_mov_b32 v[0:1], v[4:5], v[4:5] op_sel:[0,1]
	v_pk_mov_b32 v[2:3], v[6:7], v[6:7] op_sel:[0,1]
.LBB2_49:                               ;   in Loop: Header=BB2_29 Depth=1
	s_or_b64 exec, exec, s[16:17]
	s_bitcmp0_b32 s14, 14
	s_cselect_b64 s[6:7], -1, 0
	s_and_b64 vcc, exec, s[6:7]
	s_cbranch_vccnz .LBB2_51
; %bb.50:                               ;   in Loop: Header=BB2_29 Depth=1
	v_mov_b32_e32 v4, s18
	v_cmp_gt_i32_e32 vcc, 64, v18
	s_and_b32 s15, s14, 0x3fff
	v_cndmask_b32_e32 v4, 0, v4, vcc
	s_add_i32 s15, s15, s12
	v_add3_u32 v4, v18, v4, s19
	s_add_i32 s22, s22, s23
	s_cbranch_execnz .LBB2_28
	s_branch .LBB2_52
.LBB2_51:                               ;   in Loop: Header=BB2_29 Depth=1
                                        ; implicit-def: $vgpr4
                                        ; implicit-def: $sgpr15
	s_add_i32 s22, s22, s23
.LBB2_52:                               ;   in Loop: Header=BB2_29 Depth=1
	s_and_saveexec_b64 s[16:17], s[4:5]
	s_cbranch_execz .LBB2_27
; %bb.53:                               ;   in Loop: Header=BB2_29 Depth=1
	s_and_b32 s4, s14, 0x3fff
	s_add_i32 s5, s4, s12
	s_cmp_lg_u32 s4, 0
	s_cselect_b32 s4, s5, -1
	v_mov_b32_e32 v4, s12
	v_mov_b32_e32 v5, s4
	ds_write_b64 v17, v[4:5] offset:16992
	v_mov_b32_e32 v4, s13
	ds_write_b8 v17, v4 offset:17000
	v_mov_b32_e32 v4, s22
	s_lshr_b32 s4, s14, 17
	ds_write_b32 v17, v4 offset:17004
	v_mov_b32_e32 v4, s4
	v_mov_b32_e32 v18, 0
	ds_write_b16 v17, v4 offset:17002
	s_branch .LBB2_27
.LBB2_54:
	s_andn2_saveexec_b64 s[6:7], s[8:9]
	s_cbranch_execz .LBB2_67
.LBB2_55:
	v_cmp_gt_u32_e32 vcc, 6, v11
	s_mov_b64 s[10:11], s[4:5]
                                        ; implicit-def: $vgpr0_vgpr1
                                        ; implicit-def: $vgpr2
	s_and_saveexec_b64 s[8:9], vcc
	s_cbranch_execz .LBB2_57
; %bb.56:
	v_mov_b32_e32 v0, 0
	ds_read_b64 v[0:1], v0 offset:16448
	v_lshlrev_b32_e32 v2, 4, v11
	s_or_b64 s[10:11], s[4:5], exec
	s_waitcnt lgkmcnt(0)
	v_add_co_u32_e32 v0, vcc, v0, v2
	v_addc_co_u32_e32 v1, vcc, 0, v1, vcc
	v_add_u32_e32 v2, 0x4080, v2
.LBB2_57:
	s_or_b64 exec, exec, s[8:9]
	s_andn2_b64 s[4:5], s[4:5], exec
	s_and_b64 s[8:9], s[10:11], exec
	s_or_b64 s[4:5], s[4:5], s[8:9]
	s_or_b64 exec, exec, s[6:7]
	s_and_saveexec_b64 s[6:7], s[4:5]
	s_cbranch_execnz .LBB2_68
	s_branch .LBB2_69
.LBB2_58:
	s_or_b64 exec, exec, s[10:11]
	v_mov_b32_e32 v4, s14
	s_and_saveexec_b64 s[10:11], s[12:13]
	s_cbranch_execz .LBB2_19
.LBB2_59:
	s_load_dwordx2 s[16:17], s[36:37], 0x10
	s_mov_b64 s[12:13], 0
                                        ; implicit-def: $sgpr19
	s_waitcnt lgkmcnt(0)
	v_and_b32_e32 v1, s17, v1
	v_and_b32_e32 v0, s16, v0
	v_cmp_ne_u64_e32 vcc, 0, v[0:1]
	s_and_saveexec_b64 s[14:15], vcc
	s_xor_b64 s[14:15], exec, s[14:15]
; %bb.60:
	v_and_b32_e32 v1, s16, v2
	v_and_b32_e32 v0, s17, v3
	v_bcnt_u32_b32 v1, v1, 0
	s_bcnt1_i32_b64 s19, s[8:9]
	v_bcnt_u32_b32 v0, v0, v1
	v_add_u32_e32 v0, s19, v0
	v_cmp_eq_u32_e32 vcc, s45, v0
	s_and_b64 s[12:13], vcc, exec
; %bb.61:
	s_or_b64 exec, exec, s[14:15]
	s_andn2_b64 s[6:7], s[6:7], exec
	s_and_b64 s[8:9], s[12:13], exec
	v_mov_b32_e32 v4, s19
	s_or_b64 s[6:7], s[6:7], s[8:9]
	s_or_b64 exec, exec, s[10:11]
	s_and_saveexec_b64 s[8:9], s[6:7]
	s_cbranch_execnz .LBB2_20
	s_branch .LBB2_21
.LBB2_62:
	s_or_saveexec_b64 s[4:5], s[10:11]
	s_mov_b64 s[6:7], 0
                                        ; implicit-def: $vgpr0_vgpr1
                                        ; implicit-def: $vgpr2
	s_xor_b64 exec, exec, s[4:5]
	s_cbranch_execz .LBB2_66
; %bb.63:
	s_movk_i32 s6, 0x58
	v_cmp_gt_u32_e32 vcc, s6, v11
	s_mov_b64 s[6:7], 0
                                        ; implicit-def: $vgpr0_vgpr1
                                        ; implicit-def: $vgpr2
	s_and_saveexec_b64 s[10:11], vcc
	s_xor_b64 s[10:11], exec, s[10:11]
	s_cbranch_execz .LBB2_65
; %bb.64:
	v_mov_b32_e32 v0, 0
	ds_read_b32 v2, v0 offset:16496
	ds_read_b64 v[0:1], v0 offset:16448
	s_movk_i32 s12, 0x180
	s_mov_b64 s[6:7], exec
	s_waitcnt lgkmcnt(1)
	v_mul_hi_i32 v3, v2, s12
	v_mul_lo_u32 v2, v2, s12
	s_waitcnt lgkmcnt(0)
	v_add_co_u32_e32 v0, vcc, v0, v2
	v_addc_co_u32_e32 v1, vcc, v1, v3, vcc
	v_add_co_u32_e32 v0, vcc, 0x60, v0
	v_lshlrev_b32_e32 v2, 4, v11
	v_addc_co_u32_e32 v1, vcc, 0, v1, vcc
	v_add_u32_e32 v3, 0xfffffc00, v2
	v_ashrrev_i32_e32 v4, 31, v3
	v_add_co_u32_e32 v0, vcc, v0, v3
	v_addc_co_u32_e32 v1, vcc, v1, v4, vcc
	v_add_u32_e32 v2, 0x3ce0, v2
.LBB2_65:
	s_or_b64 exec, exec, s[10:11]
	s_and_b64 s[6:7], s[6:7], exec
.LBB2_66:
	s_or_b64 exec, exec, s[4:5]
	s_and_b64 s[4:5], s[6:7], exec
	s_andn2_saveexec_b64 s[6:7], s[8:9]
	s_cbranch_execnz .LBB2_55
.LBB2_67:
	s_or_b64 exec, exec, s[6:7]
	s_and_saveexec_b64 s[6:7], s[4:5]
	s_cbranch_execz .LBB2_69
.LBB2_68:
	flat_load_dwordx2 v[4:5], v[0:1]
	s_waitcnt vmcnt(0) lgkmcnt(0)
	ds_write_b64 v2, v[4:5]
	flat_load_dwordx2 v[0:1], v[0:1] offset:8
	s_waitcnt vmcnt(0) lgkmcnt(0)
	ds_write_b64 v2, v[0:1] offset:8
.LBB2_69:
	s_or_b64 exec, exec, s[6:7]
	v_mov_b32_e32 v42, 0
	s_waitcnt lgkmcnt(0)
	s_barrier
	ds_read_b32 v0, v42 offset:16500
	s_waitcnt lgkmcnt(0)
	v_cmp_ne_u32_e32 vcc, 0, v0
	s_cbranch_vccz .LBB2_82
.LBB2_70:
	s_and_saveexec_b64 s[4:5], s[40:41]
	s_cbranch_execz .LBB2_81
; %bb.71:
	v_mov_b32_e32 v6, 0
	ds_read_b64 v[2:3], v6 offset:16976
	ds_read_b32 v7, v6 offset:17004
	s_waitcnt lgkmcnt(0)
	v_add_co_u32_e32 v0, vcc, 1, v2
	v_addc_co_u32_e32 v1, vcc, 0, v3, vcc
	v_ashrrev_i32_e32 v5, 31, v7
	v_add_co_u32_e32 v4, vcc, v2, v7
	v_addc_co_u32_e32 v5, vcc, v3, v5, vcc
	v_cmp_gt_u64_e32 vcc, v[0:1], v[4:5]
	s_cbranch_vccnz .LBB2_80
; %bb.72:
	ds_read_u8 v8, v6 offset:17000
	s_movk_i32 s6, 0x494e
	s_movk_i32 s7, 0x491a
	s_branch .LBB2_74
.LBB2_73:                               ;   in Loop: Header=BB2_74 Depth=1
	v_add_co_u32_e32 v0, vcc, 1, v0
	v_addc_co_u32_e32 v1, vcc, 0, v1, vcc
	s_waitcnt lgkmcnt(0)
	v_ashrrev_i32_e32 v5, 31, v7
	v_add_co_u32_e32 v4, vcc, v2, v7
	v_addc_co_u32_e32 v5, vcc, v3, v5, vcc
	v_cmp_le_u64_e32 vcc, v[0:1], v[4:5]
	s_add_i32 s6, s6, 64
	s_addk_i32 s7, 0x80
	s_cbranch_vccz .LBB2_80
.LBB2_74:                               ; =>This Inner Loop Header: Depth=1
	s_waitcnt lgkmcnt(0)
	v_cmp_ne_u16_sdwa s[4:5], v8, v6 src0_sel:BYTE_0 src1_sel:DWORD
	s_and_b64 vcc, exec, s[4:5]
	s_cbranch_vccz .LBB2_79
; %bb.75:                               ;   in Loop: Header=BB2_74 Depth=1
	v_mov_b32_e32 v4, s7
	ds_read_u8 v4, v4
	s_waitcnt lgkmcnt(0)
	v_and_b32_e32 v4, 1, v4
	s_cbranch_execnz .LBB2_77
.LBB2_76:                               ;   in Loop: Header=BB2_74 Depth=1
	v_mov_b32_e32 v4, s6
	ds_read_u16 v4, v4
	s_waitcnt lgkmcnt(0)
	v_bfe_u32 v4, v4, 6, 1
.LBB2_77:                               ;   in Loop: Header=BB2_74 Depth=1
	v_cmp_eq_u32_e32 vcc, 0, v4
	s_cbranch_vccnz .LBB2_73
; %bb.78:                               ;   in Loop: Header=BB2_74 Depth=1
	s_memrealtime s[4:5]
	ds_read_u8 v8, v6 offset:17000
	ds_read_b32 v2, v6 offset:16496
	ds_read_b64 v[4:5], v6 offset:16600
	s_waitcnt lgkmcnt(0)
	v_ashrrev_i32_e32 v3, 31, v2
	v_lshlrev_b64 v[2:3], 10, v[2:3]
	v_add_co_u32_e32 v2, vcc, v4, v2
	v_and_b32_e32 v4, 63, v0
	v_addc_co_u32_e32 v3, vcc, v5, v3, vcc
	v_lshlrev_b32_e32 v4, 4, v4
	v_add_co_u32_e32 v4, vcc, v2, v4
	v_addc_co_u32_e32 v5, vcc, 0, v3, vcc
	v_mov_b32_e32 v2, s4
	v_mov_b32_e32 v3, s5
	flat_store_dwordx4 v[4:5], v[0:3]
	ds_read_b64 v[2:3], v6 offset:16976
	ds_read_b32 v7, v6 offset:17004
	s_branch .LBB2_73
.LBB2_79:                               ;   in Loop: Header=BB2_74 Depth=1
                                        ; implicit-def: $vgpr4
	s_branch .LBB2_76
.LBB2_80:
	v_mov_b32_e32 v2, 0
	ds_read_b32 v3, v2 offset:16496
	ds_read_b64 v[0:1], v2 offset:16448
	s_movk_i32 s4, 0x180
	ds_write_b64 v2, v[4:5] offset:16976
	s_waitcnt lgkmcnt(0)
	v_mul_hi_i32 v2, v3, s4
	v_mul_lo_u32 v3, v3, s4
	v_add_co_u32_e32 v0, vcc, v0, v3
	v_addc_co_u32_e32 v1, vcc, v1, v2, vcc
	flat_store_dwordx2 v[0:1], v[4:5] offset:464
.LBB2_81:
	s_endpgm
.LBB2_82:
	s_movk_i32 s4, 0x44
	v_cmp_eq_u32_e32 vcc, 1, v12
	v_cmp_gt_u32_e64 s[4:5], s4, v11
	s_and_b64 s[46:47], s[4:5], vcc
	v_lshlrev_b64 v[44:45], v11, 1
	s_movk_i32 s4, 0x160
	v_mov_b32_e32 v0, 0xffffeb98
	v_add_co_u32_e32 v56, vcc, -1, v44
	s_add_u32 s49, s36, 48
	v_cmp_eq_u32_e64 s[42:43], 64, v11
	v_mad_u32_u24 v41, v11, s4, v0
	v_and_b32_e32 v46, 63, v11
	v_mul_u32_u24_e32 v47, 0x1010, v12
	v_addc_co_u32_e32 v57, vcc, -1, v45, vcc
	s_addc_u32 s50, s37, 0
	s_movk_i32 s51, 0x58
	s_movk_i32 s52, 0xffc0
	v_mov_b32_e32 v58, 0x57
	v_mov_b32_e32 v59, 0x54
	;; [unrolled: 1-line block ×7, first 2 shown]
	s_branch .LBB2_84
.LBB2_83:                               ;   in Loop: Header=BB2_84 Depth=1
	s_waitcnt lgkmcnt(0)
	s_barrier
	ds_read_b32 v0, v42 offset:16500
	s_waitcnt lgkmcnt(0)
	v_readfirstlane_b32 s4, v0
	s_cmp_lg_u32 s4, 0
	s_cselect_b64 s[4:5], -1, 0
	s_and_b64 vcc, exec, s[4:5]
	s_cbranch_vccnz .LBB2_70
.LBB2_84:                               ; =>This Loop Header: Depth=1
                                        ;     Child Loop BB2_88 Depth 2
                                        ;     Child Loop BB2_579 Depth 2
	;; [unrolled: 1-line block ×3, first 2 shown]
	s_and_saveexec_b64 s[4:5], s[40:41]
	s_cbranch_execz .LBB2_94
; %bb.85:                               ;   in Loop: Header=BB2_84 Depth=1
	ds_read_b64 v[2:3], v42 offset:16976
	ds_read_b32 v4, v42 offset:17004
	s_waitcnt lgkmcnt(0)
	v_add_co_u32_e32 v0, vcc, 1, v2
	v_addc_co_u32_e32 v1, vcc, 0, v3, vcc
	s_waitcnt lgkmcnt(0)
	v_ashrrev_i32_e32 v5, 31, v4
	v_add_co_u32_e32 v6, vcc, v2, v4
	v_addc_co_u32_e32 v7, vcc, v3, v5, vcc
	v_cmp_gt_u64_e32 vcc, v[0:1], v[6:7]
	s_cbranch_vccnz .LBB2_94
; %bb.86:                               ;   in Loop: Header=BB2_84 Depth=1
	ds_read_u8 v5, v42 offset:17000
	s_movk_i32 s8, 0x494e
	s_movk_i32 s9, 0x491a
	s_branch .LBB2_88
.LBB2_87:                               ;   in Loop: Header=BB2_88 Depth=2
	v_add_co_u32_e32 v0, vcc, 1, v0
	v_addc_co_u32_e32 v1, vcc, 0, v1, vcc
	s_waitcnt lgkmcnt(0)
	v_ashrrev_i32_e32 v7, 31, v4
	v_add_co_u32_e32 v6, vcc, v2, v4
	v_addc_co_u32_e32 v7, vcc, v3, v7, vcc
	v_cmp_le_u64_e32 vcc, v[0:1], v[6:7]
	s_add_i32 s8, s8, 64
	s_addk_i32 s9, 0x80
	s_cbranch_vccz .LBB2_94
.LBB2_88:                               ;   Parent Loop BB2_84 Depth=1
                                        ; =>  This Inner Loop Header: Depth=2
	s_waitcnt lgkmcnt(0)
	v_cmp_ne_u16_sdwa s[6:7], v5, v42 src0_sel:BYTE_0 src1_sel:DWORD
	s_and_b64 vcc, exec, s[6:7]
	s_cbranch_vccz .LBB2_93
; %bb.89:                               ;   in Loop: Header=BB2_88 Depth=2
	v_mov_b32_e32 v6, s9
	ds_read_u8 v6, v6
	s_waitcnt lgkmcnt(0)
	v_and_b32_e32 v6, 1, v6
	s_cbranch_execnz .LBB2_91
.LBB2_90:                               ;   in Loop: Header=BB2_88 Depth=2
	v_mov_b32_e32 v6, s8
	ds_read_u16 v6, v6
	s_waitcnt lgkmcnt(0)
	v_bfe_u32 v6, v6, 6, 1
.LBB2_91:                               ;   in Loop: Header=BB2_88 Depth=2
	v_cmp_eq_u32_e32 vcc, 0, v6
	s_cbranch_vccnz .LBB2_87
; %bb.92:                               ;   in Loop: Header=BB2_88 Depth=2
	s_memrealtime s[6:7]
	ds_read_u8 v5, v42 offset:17000
	ds_read_b32 v2, v42 offset:16496
	ds_read_b64 v[6:7], v42 offset:16592
	v_and_b32_e32 v4, 63, v0
	v_lshlrev_b32_e32 v4, 4, v4
	s_waitcnt lgkmcnt(0)
	v_ashrrev_i32_e32 v3, 31, v2
	v_lshlrev_b64 v[2:3], 10, v[2:3]
	v_add_co_u32_e32 v2, vcc, v6, v2
	v_addc_co_u32_e32 v3, vcc, v7, v3, vcc
	v_add_co_u32_e32 v6, vcc, v2, v4
	v_addc_co_u32_e32 v7, vcc, 0, v3, vcc
	v_mov_b32_e32 v2, s6
	v_mov_b32_e32 v3, s7
	flat_store_dwordx4 v[6:7], v[0:3]
	ds_read_b64 v[2:3], v42 offset:16976
	ds_read_b32 v4, v42 offset:17004
	s_branch .LBB2_87
.LBB2_93:                               ;   in Loop: Header=BB2_88 Depth=2
                                        ; implicit-def: $vgpr6
	s_branch .LBB2_90
.LBB2_94:                               ;   in Loop: Header=BB2_84 Depth=1
	s_or_b64 exec, exec, s[4:5]
	ds_read_u16 v0, v42 offset:17002
	s_mov_b64 s[4:5], -1
	s_waitcnt lgkmcnt(0)
	v_cmp_lt_u32_e32 vcc, s51, v0
	v_readfirstlane_b32 s53, v0
	s_cbranch_vccz .LBB2_259
; %bb.95:                               ;   in Loop: Header=BB2_84 Depth=1
	s_cmpk_gt_u32 s53, 0x85
	s_cbranch_scc0 .LBB2_174
; %bb.96:                               ;   in Loop: Header=BB2_84 Depth=1
	s_cmpk_gt_u32 s53, 0x9b
	s_cbranch_scc0 .LBB2_136
	;; [unrolled: 3-line block ×5, first 2 shown]
; %bb.100:                              ;   in Loop: Header=BB2_84 Depth=1
	s_cmpk_gt_u32 s53, 0xb1
	s_cbranch_scc0 .LBB2_102
; %bb.101:                              ;   in Loop: Header=BB2_84 Depth=1
	s_add_u32 s8, s36, 0x1000
	s_addc_u32 s9, s37, 0
	s_mov_b64 s[4:5], s[38:39]
	s_mov_b64 s[10:11], s[34:35]
	s_mov_b32 s12, s45
	s_mov_b32 s13, s44
	;; [unrolled: 1-line block ×3, first 2 shown]
	v_mov_b32_e32 v31, v40
	s_getpc_b64 s[6:7]
	s_add_u32 s6, s6, _Z50ncclDevFunc_AlltoAllPivot_RING_SIMPLE_Sum_i8_0_0_4v@rel32@lo+4
	s_addc_u32 s7, s7, _Z50ncclDevFunc_AlltoAllPivot_RING_SIMPLE_Sum_i8_0_0_4v@rel32@hi+12
	s_swappc_b64 s[30:31], s[6:7]
	s_mov_b64 s[4:5], 0
.LBB2_102:                              ;   in Loop: Header=BB2_84 Depth=1
	s_andn2_b64 vcc, exec, s[4:5]
	s_cbranch_vccnz .LBB2_104
; %bb.103:                              ;   in Loop: Header=BB2_84 Depth=1
	s_add_u32 s8, s36, 0x1000
	s_addc_u32 s9, s37, 0
	s_mov_b64 s[4:5], s[38:39]
	s_mov_b64 s[10:11], s[34:35]
	s_mov_b32 s12, s45
	s_mov_b32 s13, s44
	;; [unrolled: 1-line block ×3, first 2 shown]
	v_mov_b32_e32 v31, v40
	s_getpc_b64 s[6:7]
	s_add_u32 s6, s6, _Z45ncclDevFunc_SendRecv_RING_SIMPLE_Sum_i8_0_0_4v@rel32@lo+4
	s_addc_u32 s7, s7, _Z45ncclDevFunc_SendRecv_RING_SIMPLE_Sum_i8_0_0_4v@rel32@hi+12
	s_swappc_b64 s[30:31], s[6:7]
.LBB2_104:                              ;   in Loop: Header=BB2_84 Depth=1
	s_mov_b64 s[4:5], 0
.LBB2_105:                              ;   in Loop: Header=BB2_84 Depth=1
	s_andn2_b64 vcc, exec, s[4:5]
	s_cbranch_vccnz .LBB2_110
; %bb.106:                              ;   in Loop: Header=BB2_84 Depth=1
	s_cmpk_lg_i32 s53, 0xad
	s_mov_b64 s[4:5], -1
	s_cbranch_scc0 .LBB2_108
; %bb.107:                              ;   in Loop: Header=BB2_84 Depth=1
	s_add_u32 s8, s36, 0x1000
	s_addc_u32 s9, s37, 0
	s_mov_b64 s[4:5], s[38:39]
	s_mov_b64 s[10:11], s[34:35]
	s_mov_b32 s12, s45
	s_mov_b32 s13, s44
	;; [unrolled: 1-line block ×3, first 2 shown]
	v_mov_b32_e32 v31, v40
	s_getpc_b64 s[6:7]
	s_add_u32 s6, s6, _Z54ncclDevFunc_AllReduce_RING_SIMPLE_SumPostDiv_u64_0_0_4v@rel32@lo+4
	s_addc_u32 s7, s7, _Z54ncclDevFunc_AllReduce_RING_SIMPLE_SumPostDiv_u64_0_0_4v@rel32@hi+12
	s_swappc_b64 s[30:31], s[6:7]
	s_mov_b64 s[4:5], 0
.LBB2_108:                              ;   in Loop: Header=BB2_84 Depth=1
	s_andn2_b64 vcc, exec, s[4:5]
	s_cbranch_vccnz .LBB2_110
; %bb.109:                              ;   in Loop: Header=BB2_84 Depth=1
	s_add_u32 s8, s36, 0x1000
	s_addc_u32 s9, s37, 0
	s_mov_b64 s[4:5], s[38:39]
	s_mov_b64 s[10:11], s[34:35]
	s_mov_b32 s12, s45
	s_mov_b32 s13, s44
	;; [unrolled: 1-line block ×3, first 2 shown]
	v_mov_b32_e32 v31, v40
	s_getpc_b64 s[6:7]
	s_add_u32 s6, s6, _Z54ncclDevFunc_AllReduce_RING_SIMPLE_SumPostDiv_u32_0_0_4v@rel32@lo+4
	s_addc_u32 s7, s7, _Z54ncclDevFunc_AllReduce_RING_SIMPLE_SumPostDiv_u32_0_0_4v@rel32@hi+12
	s_swappc_b64 s[30:31], s[6:7]
.LBB2_110:                              ;   in Loop: Header=BB2_84 Depth=1
	s_mov_b64 s[4:5], 0
.LBB2_111:                              ;   in Loop: Header=BB2_84 Depth=1
	s_andn2_b64 vcc, exec, s[4:5]
	s_cbranch_vccnz .LBB2_119
; %bb.112:                              ;   in Loop: Header=BB2_84 Depth=1
	s_cmpk_gt_u32 s53, 0xa9
	s_mov_b64 s[4:5], -1
	s_cbranch_scc0 .LBB2_114
; %bb.113:                              ;   in Loop: Header=BB2_84 Depth=1
	s_add_u32 s8, s36, 0x1000
	s_addc_u32 s9, s37, 0
	s_mov_b64 s[4:5], s[38:39]
	s_mov_b64 s[10:11], s[34:35]
	s_mov_b32 s12, s45
	s_mov_b32 s13, s44
	;; [unrolled: 1-line block ×3, first 2 shown]
	v_mov_b32_e32 v31, v40
	s_getpc_b64 s[6:7]
	s_add_u32 s6, s6, _Z53ncclDevFunc_AllReduce_RING_SIMPLE_SumPostDiv_u8_0_0_4v@rel32@lo+4
	s_addc_u32 s7, s7, _Z53ncclDevFunc_AllReduce_RING_SIMPLE_SumPostDiv_u8_0_0_4v@rel32@hi+12
	s_swappc_b64 s[30:31], s[6:7]
	s_mov_b64 s[4:5], 0
.LBB2_114:                              ;   in Loop: Header=BB2_84 Depth=1
	s_andn2_b64 vcc, exec, s[4:5]
	s_cbranch_vccnz .LBB2_119
; %bb.115:                              ;   in Loop: Header=BB2_84 Depth=1
	s_cmpk_lg_i32 s53, 0xa7
	s_mov_b64 s[4:5], -1
	s_cbranch_scc0 .LBB2_117
; %bb.116:                              ;   in Loop: Header=BB2_84 Depth=1
	s_add_u32 s8, s36, 0x1000
	s_addc_u32 s9, s37, 0
	s_mov_b64 s[4:5], s[38:39]
	s_mov_b64 s[10:11], s[34:35]
	s_mov_b32 s12, s45
	s_mov_b32 s13, s44
	;; [unrolled: 1-line block ×3, first 2 shown]
	v_mov_b32_e32 v31, v40
	s_getpc_b64 s[6:7]
	s_add_u32 s6, s6, _Z56ncclDevFunc_AllReduce_RING_SIMPLE_PreMulSum_f8e5m2_0_0_4v@rel32@lo+4
	s_addc_u32 s7, s7, _Z56ncclDevFunc_AllReduce_RING_SIMPLE_PreMulSum_f8e5m2_0_0_4v@rel32@hi+12
	s_swappc_b64 s[30:31], s[6:7]
	s_mov_b64 s[4:5], 0
.LBB2_117:                              ;   in Loop: Header=BB2_84 Depth=1
	s_andn2_b64 vcc, exec, s[4:5]
	s_cbranch_vccnz .LBB2_119
; %bb.118:                              ;   in Loop: Header=BB2_84 Depth=1
	s_add_u32 s8, s36, 0x1000
	s_addc_u32 s9, s37, 0
	s_mov_b64 s[4:5], s[38:39]
	s_mov_b64 s[10:11], s[34:35]
	s_mov_b32 s12, s45
	s_mov_b32 s13, s44
	;; [unrolled: 1-line block ×3, first 2 shown]
	v_mov_b32_e32 v31, v40
	s_getpc_b64 s[6:7]
	s_add_u32 s6, s6, _Z56ncclDevFunc_AllReduce_RING_SIMPLE_PreMulSum_f8e4m3_0_0_4v@rel32@lo+4
	s_addc_u32 s7, s7, _Z56ncclDevFunc_AllReduce_RING_SIMPLE_PreMulSum_f8e4m3_0_0_4v@rel32@hi+12
	s_swappc_b64 s[30:31], s[6:7]
.LBB2_119:                              ;   in Loop: Header=BB2_84 Depth=1
	s_mov_b64 s[4:5], 0
.LBB2_120:                              ;   in Loop: Header=BB2_84 Depth=1
	s_andn2_b64 vcc, exec, s[4:5]
	s_cbranch_vccnz .LBB2_135
; %bb.121:                              ;   in Loop: Header=BB2_84 Depth=1
	s_cmpk_gt_u32 s53, 0xa0
	s_mov_b64 s[4:5], -1
	s_cbranch_scc0 .LBB2_130
; %bb.122:                              ;   in Loop: Header=BB2_84 Depth=1
	s_cmpk_gt_u32 s53, 0xa3
	s_cbranch_scc0 .LBB2_124
; %bb.123:                              ;   in Loop: Header=BB2_84 Depth=1
	s_add_u32 s8, s36, 0x1000
	s_addc_u32 s9, s37, 0
	s_mov_b64 s[4:5], s[38:39]
	s_mov_b64 s[10:11], s[34:35]
	s_mov_b32 s12, s45
	s_mov_b32 s13, s44
	;; [unrolled: 1-line block ×3, first 2 shown]
	v_mov_b32_e32 v31, v40
	s_getpc_b64 s[6:7]
	s_add_u32 s6, s6, _Z54ncclDevFunc_AllReduce_RING_SIMPLE_PreMulSum_bf16_0_1_4v@rel32@lo+4
	s_addc_u32 s7, s7, _Z54ncclDevFunc_AllReduce_RING_SIMPLE_PreMulSum_bf16_0_1_4v@rel32@hi+12
	s_swappc_b64 s[30:31], s[6:7]
	s_mov_b64 s[4:5], 0
.LBB2_124:                              ;   in Loop: Header=BB2_84 Depth=1
	s_andn2_b64 vcc, exec, s[4:5]
	s_cbranch_vccnz .LBB2_129
; %bb.125:                              ;   in Loop: Header=BB2_84 Depth=1
	s_cmpk_lg_i32 s53, 0xa1
	s_mov_b64 s[4:5], -1
	s_cbranch_scc0 .LBB2_127
; %bb.126:                              ;   in Loop: Header=BB2_84 Depth=1
	s_add_u32 s8, s36, 0x1000
	s_addc_u32 s9, s37, 0
	s_mov_b64 s[4:5], s[38:39]
	s_mov_b64 s[10:11], s[34:35]
	s_mov_b32 s12, s45
	s_mov_b32 s13, s44
	;; [unrolled: 1-line block ×3, first 2 shown]
	v_mov_b32_e32 v31, v40
	s_getpc_b64 s[6:7]
	s_add_u32 s6, s6, _Z54ncclDevFunc_AllReduce_RING_SIMPLE_PreMulSum_bf16_0_0_4v@rel32@lo+4
	s_addc_u32 s7, s7, _Z54ncclDevFunc_AllReduce_RING_SIMPLE_PreMulSum_bf16_0_0_4v@rel32@hi+12
	s_swappc_b64 s[30:31], s[6:7]
	s_mov_b64 s[4:5], 0
.LBB2_127:                              ;   in Loop: Header=BB2_84 Depth=1
	s_andn2_b64 vcc, exec, s[4:5]
	s_cbranch_vccnz .LBB2_129
; %bb.128:                              ;   in Loop: Header=BB2_84 Depth=1
	s_add_u32 s8, s36, 0x1000
	s_addc_u32 s9, s37, 0
	s_mov_b64 s[4:5], s[38:39]
	s_mov_b64 s[10:11], s[34:35]
	s_mov_b32 s12, s45
	s_mov_b32 s13, s44
	s_mov_b32 s14, s33
	v_mov_b32_e32 v31, v40
	s_getpc_b64 s[6:7]
	s_add_u32 s6, s6, _Z53ncclDevFunc_AllReduce_RING_SIMPLE_PreMulSum_f64_0_0_4v@rel32@lo+4
	s_addc_u32 s7, s7, _Z53ncclDevFunc_AllReduce_RING_SIMPLE_PreMulSum_f64_0_0_4v@rel32@hi+12
	s_swappc_b64 s[30:31], s[6:7]
.LBB2_129:                              ;   in Loop: Header=BB2_84 Depth=1
	s_mov_b64 s[4:5], 0
.LBB2_130:                              ;   in Loop: Header=BB2_84 Depth=1
	s_andn2_b64 vcc, exec, s[4:5]
	s_cbranch_vccnz .LBB2_135
; %bb.131:                              ;   in Loop: Header=BB2_84 Depth=1
	s_cmpk_gt_u32 s53, 0x9d
	s_mov_b64 s[4:5], -1
	s_cbranch_scc0 .LBB2_133
; %bb.132:                              ;   in Loop: Header=BB2_84 Depth=1
	s_add_u32 s8, s36, 0x1000
	s_addc_u32 s9, s37, 0
	s_mov_b64 s[4:5], s[38:39]
	s_mov_b64 s[10:11], s[34:35]
	s_mov_b32 s12, s45
	s_mov_b32 s13, s44
	;; [unrolled: 1-line block ×3, first 2 shown]
	v_mov_b32_e32 v31, v40
	s_getpc_b64 s[6:7]
	s_add_u32 s6, s6, _Z53ncclDevFunc_AllReduce_RING_SIMPLE_PreMulSum_f32_0_0_4v@rel32@lo+4
	s_addc_u32 s7, s7, _Z53ncclDevFunc_AllReduce_RING_SIMPLE_PreMulSum_f32_0_0_4v@rel32@hi+12
	s_swappc_b64 s[30:31], s[6:7]
	s_mov_b64 s[4:5], 0
.LBB2_133:                              ;   in Loop: Header=BB2_84 Depth=1
	s_andn2_b64 vcc, exec, s[4:5]
	s_cbranch_vccnz .LBB2_135
; %bb.134:                              ;   in Loop: Header=BB2_84 Depth=1
	s_add_u32 s8, s36, 0x1000
	s_addc_u32 s9, s37, 0
	s_mov_b64 s[4:5], s[38:39]
	s_mov_b64 s[10:11], s[34:35]
	s_mov_b32 s12, s45
	s_mov_b32 s13, s44
	;; [unrolled: 1-line block ×3, first 2 shown]
	v_mov_b32_e32 v31, v40
	s_getpc_b64 s[6:7]
	s_add_u32 s6, s6, _Z53ncclDevFunc_AllReduce_RING_SIMPLE_PreMulSum_f16_0_0_4v@rel32@lo+4
	s_addc_u32 s7, s7, _Z53ncclDevFunc_AllReduce_RING_SIMPLE_PreMulSum_f16_0_0_4v@rel32@hi+12
	s_swappc_b64 s[30:31], s[6:7]
.LBB2_135:                              ;   in Loop: Header=BB2_84 Depth=1
	s_mov_b64 s[4:5], 0
.LBB2_136:                              ;   in Loop: Header=BB2_84 Depth=1
	s_andn2_b64 vcc, exec, s[4:5]
	s_cbranch_vccnz .LBB2_173
; %bb.137:                              ;   in Loop: Header=BB2_84 Depth=1
	s_cmpk_gt_u32 s53, 0x90
	s_mov_b64 s[4:5], -1
	s_cbranch_scc0 .LBB2_154
; %bb.138:                              ;   in Loop: Header=BB2_84 Depth=1
	s_cmpk_gt_u32 s53, 0x95
	s_cbranch_scc0 .LBB2_148
; %bb.139:                              ;   in Loop: Header=BB2_84 Depth=1
	s_cmpk_gt_u32 s53, 0x98
	s_cbranch_scc0 .LBB2_145
; %bb.140:                              ;   in Loop: Header=BB2_84 Depth=1
	s_cmpk_lg_i32 s53, 0x99
	s_cbranch_scc0 .LBB2_142
; %bb.141:                              ;   in Loop: Header=BB2_84 Depth=1
	s_add_u32 s8, s36, 0x1000
	s_addc_u32 s9, s37, 0
	s_mov_b64 s[4:5], s[38:39]
	s_mov_b64 s[10:11], s[34:35]
	s_mov_b32 s12, s45
	s_mov_b32 s13, s44
	;; [unrolled: 1-line block ×3, first 2 shown]
	v_mov_b32_e32 v31, v40
	s_getpc_b64 s[6:7]
	s_add_u32 s6, s6, _Z53ncclDevFunc_AllReduce_RING_SIMPLE_PreMulSum_u64_0_0_4v@rel32@lo+4
	s_addc_u32 s7, s7, _Z53ncclDevFunc_AllReduce_RING_SIMPLE_PreMulSum_u64_0_0_4v@rel32@hi+12
	s_swappc_b64 s[30:31], s[6:7]
	s_mov_b64 s[4:5], 0
.LBB2_142:                              ;   in Loop: Header=BB2_84 Depth=1
	s_andn2_b64 vcc, exec, s[4:5]
	s_cbranch_vccnz .LBB2_144
; %bb.143:                              ;   in Loop: Header=BB2_84 Depth=1
	s_add_u32 s8, s36, 0x1000
	s_addc_u32 s9, s37, 0
	s_mov_b64 s[4:5], s[38:39]
	s_mov_b64 s[10:11], s[34:35]
	s_mov_b32 s12, s45
	s_mov_b32 s13, s44
	;; [unrolled: 1-line block ×3, first 2 shown]
	v_mov_b32_e32 v31, v40
	s_getpc_b64 s[6:7]
	s_add_u32 s6, s6, _Z53ncclDevFunc_AllReduce_RING_SIMPLE_PreMulSum_u32_0_0_4v@rel32@lo+4
	s_addc_u32 s7, s7, _Z53ncclDevFunc_AllReduce_RING_SIMPLE_PreMulSum_u32_0_0_4v@rel32@hi+12
	s_swappc_b64 s[30:31], s[6:7]
.LBB2_144:                              ;   in Loop: Header=BB2_84 Depth=1
	s_mov_b64 s[4:5], 0
.LBB2_145:                              ;   in Loop: Header=BB2_84 Depth=1
	s_andn2_b64 vcc, exec, s[4:5]
	s_cbranch_vccnz .LBB2_147
; %bb.146:                              ;   in Loop: Header=BB2_84 Depth=1
	s_add_u32 s8, s36, 0x1000
	s_addc_u32 s9, s37, 0
	s_mov_b64 s[4:5], s[38:39]
	s_mov_b64 s[10:11], s[34:35]
	s_mov_b32 s12, s45
	s_mov_b32 s13, s44
	;; [unrolled: 1-line block ×3, first 2 shown]
	v_mov_b32_e32 v31, v40
	s_getpc_b64 s[6:7]
	s_add_u32 s6, s6, _Z52ncclDevFunc_AllReduce_RING_SIMPLE_PreMulSum_u8_0_0_4v@rel32@lo+4
	s_addc_u32 s7, s7, _Z52ncclDevFunc_AllReduce_RING_SIMPLE_PreMulSum_u8_0_0_4v@rel32@hi+12
	s_swappc_b64 s[30:31], s[6:7]
.LBB2_147:                              ;   in Loop: Header=BB2_84 Depth=1
	s_mov_b64 s[4:5], 0
.LBB2_148:                              ;   in Loop: Header=BB2_84 Depth=1
	s_andn2_b64 vcc, exec, s[4:5]
	s_cbranch_vccnz .LBB2_153
; %bb.149:                              ;   in Loop: Header=BB2_84 Depth=1
	s_cmpk_gt_u32 s53, 0x93
	s_mov_b64 s[4:5], -1
	s_cbranch_scc0 .LBB2_151
; %bb.150:                              ;   in Loop: Header=BB2_84 Depth=1
	s_add_u32 s8, s36, 0x1000
	s_addc_u32 s9, s37, 0
	s_mov_b64 s[4:5], s[38:39]
	s_mov_b64 s[10:11], s[34:35]
	s_mov_b32 s12, s45
	s_mov_b32 s13, s44
	;; [unrolled: 1-line block ×3, first 2 shown]
	v_mov_b32_e32 v31, v40
	s_getpc_b64 s[6:7]
	s_add_u32 s6, s6, _Z53ncclDevFunc_AllReduce_RING_SIMPLE_MinMax_f8e5m2_0_0_4v@rel32@lo+4
	s_addc_u32 s7, s7, _Z53ncclDevFunc_AllReduce_RING_SIMPLE_MinMax_f8e5m2_0_0_4v@rel32@hi+12
	s_swappc_b64 s[30:31], s[6:7]
	s_mov_b64 s[4:5], 0
.LBB2_151:                              ;   in Loop: Header=BB2_84 Depth=1
	s_andn2_b64 vcc, exec, s[4:5]
	s_cbranch_vccnz .LBB2_153
; %bb.152:                              ;   in Loop: Header=BB2_84 Depth=1
	s_add_u32 s8, s36, 0x1000
	s_addc_u32 s9, s37, 0
	s_mov_b64 s[4:5], s[38:39]
	s_mov_b64 s[10:11], s[34:35]
	s_mov_b32 s12, s45
	s_mov_b32 s13, s44
	;; [unrolled: 1-line block ×3, first 2 shown]
	v_mov_b32_e32 v31, v40
	s_getpc_b64 s[6:7]
	s_add_u32 s6, s6, _Z53ncclDevFunc_AllReduce_RING_SIMPLE_MinMax_f8e4m3_0_0_4v@rel32@lo+4
	s_addc_u32 s7, s7, _Z53ncclDevFunc_AllReduce_RING_SIMPLE_MinMax_f8e4m3_0_0_4v@rel32@hi+12
	s_swappc_b64 s[30:31], s[6:7]
.LBB2_153:                              ;   in Loop: Header=BB2_84 Depth=1
	s_mov_b64 s[4:5], 0
.LBB2_154:                              ;   in Loop: Header=BB2_84 Depth=1
	s_andn2_b64 vcc, exec, s[4:5]
	s_cbranch_vccnz .LBB2_173
; %bb.155:                              ;   in Loop: Header=BB2_84 Depth=1
	s_cmpk_gt_u32 s53, 0x8a
	s_mov_b64 s[4:5], -1
	s_cbranch_scc0 .LBB2_168
; %bb.156:                              ;   in Loop: Header=BB2_84 Depth=1
	s_cmpk_gt_u32 s53, 0x8d
	s_cbranch_scc0 .LBB2_162
; %bb.157:                              ;   in Loop: Header=BB2_84 Depth=1
	s_cmpk_eq_i32 s53, 0x90
	s_cbranch_scc1 .LBB2_159
; %bb.158:                              ;   in Loop: Header=BB2_84 Depth=1
	s_add_u32 s8, s36, 0x1000
	s_addc_u32 s9, s37, 0
	s_mov_b64 s[4:5], s[38:39]
	s_mov_b64 s[10:11], s[34:35]
	s_mov_b32 s12, s45
	s_mov_b32 s13, s44
	;; [unrolled: 1-line block ×3, first 2 shown]
	v_mov_b32_e32 v31, v40
	s_getpc_b64 s[6:7]
	s_add_u32 s6, s6, _Z51ncclDevFunc_AllReduce_RING_SIMPLE_MinMax_bf16_0_0_4v@rel32@lo+4
	s_addc_u32 s7, s7, _Z51ncclDevFunc_AllReduce_RING_SIMPLE_MinMax_bf16_0_0_4v@rel32@hi+12
	s_swappc_b64 s[30:31], s[6:7]
	s_mov_b64 s[4:5], 0
.LBB2_159:                              ;   in Loop: Header=BB2_84 Depth=1
	s_andn2_b64 vcc, exec, s[4:5]
	s_cbranch_vccnz .LBB2_161
; %bb.160:                              ;   in Loop: Header=BB2_84 Depth=1
	s_add_u32 s8, s36, 0x1000
	s_addc_u32 s9, s37, 0
	s_mov_b64 s[4:5], s[38:39]
	s_mov_b64 s[10:11], s[34:35]
	s_mov_b32 s12, s45
	s_mov_b32 s13, s44
	;; [unrolled: 1-line block ×3, first 2 shown]
	v_mov_b32_e32 v31, v40
	s_getpc_b64 s[6:7]
	s_add_u32 s6, s6, _Z51ncclDevFunc_AllReduce_RING_SIMPLE_MinMax_bf16_0_1_4v@rel32@lo+4
	s_addc_u32 s7, s7, _Z51ncclDevFunc_AllReduce_RING_SIMPLE_MinMax_bf16_0_1_4v@rel32@hi+12
	s_swappc_b64 s[30:31], s[6:7]
.LBB2_161:                              ;   in Loop: Header=BB2_84 Depth=1
	s_mov_b64 s[4:5], 0
.LBB2_162:                              ;   in Loop: Header=BB2_84 Depth=1
	s_andn2_b64 vcc, exec, s[4:5]
	s_cbranch_vccnz .LBB2_167
; %bb.163:                              ;   in Loop: Header=BB2_84 Depth=1
	s_cmpk_lg_i32 s53, 0x8b
	s_mov_b64 s[4:5], -1
	s_cbranch_scc0 .LBB2_165
; %bb.164:                              ;   in Loop: Header=BB2_84 Depth=1
	s_add_u32 s8, s36, 0x1000
	s_addc_u32 s9, s37, 0
	s_mov_b64 s[4:5], s[38:39]
	s_mov_b64 s[10:11], s[34:35]
	s_mov_b32 s12, s45
	s_mov_b32 s13, s44
	;; [unrolled: 1-line block ×3, first 2 shown]
	v_mov_b32_e32 v31, v40
	s_getpc_b64 s[6:7]
	s_add_u32 s6, s6, _Z50ncclDevFunc_AllReduce_RING_SIMPLE_MinMax_f64_0_0_4v@rel32@lo+4
	s_addc_u32 s7, s7, _Z50ncclDevFunc_AllReduce_RING_SIMPLE_MinMax_f64_0_0_4v@rel32@hi+12
	s_swappc_b64 s[30:31], s[6:7]
	s_mov_b64 s[4:5], 0
.LBB2_165:                              ;   in Loop: Header=BB2_84 Depth=1
	s_andn2_b64 vcc, exec, s[4:5]
	s_cbranch_vccnz .LBB2_167
; %bb.166:                              ;   in Loop: Header=BB2_84 Depth=1
	s_add_u32 s8, s36, 0x1000
	s_addc_u32 s9, s37, 0
	s_mov_b64 s[4:5], s[38:39]
	s_mov_b64 s[10:11], s[34:35]
	s_mov_b32 s12, s45
	s_mov_b32 s13, s44
	;; [unrolled: 1-line block ×3, first 2 shown]
	v_mov_b32_e32 v31, v40
	s_getpc_b64 s[6:7]
	s_add_u32 s6, s6, _Z50ncclDevFunc_AllReduce_RING_SIMPLE_MinMax_f32_0_0_4v@rel32@lo+4
	s_addc_u32 s7, s7, _Z50ncclDevFunc_AllReduce_RING_SIMPLE_MinMax_f32_0_0_4v@rel32@hi+12
	s_swappc_b64 s[30:31], s[6:7]
.LBB2_167:                              ;   in Loop: Header=BB2_84 Depth=1
	s_mov_b64 s[4:5], 0
.LBB2_168:                              ;   in Loop: Header=BB2_84 Depth=1
	s_andn2_b64 vcc, exec, s[4:5]
	s_cbranch_vccnz .LBB2_173
; %bb.169:                              ;   in Loop: Header=BB2_84 Depth=1
	s_cmpk_gt_u32 s53, 0x87
	s_mov_b64 s[4:5], -1
	s_cbranch_scc0 .LBB2_171
; %bb.170:                              ;   in Loop: Header=BB2_84 Depth=1
	s_add_u32 s8, s36, 0x1000
	s_addc_u32 s9, s37, 0
	s_mov_b64 s[4:5], s[38:39]
	s_mov_b64 s[10:11], s[34:35]
	s_mov_b32 s12, s45
	s_mov_b32 s13, s44
	s_mov_b32 s14, s33
	v_mov_b32_e32 v31, v40
	s_getpc_b64 s[6:7]
	s_add_u32 s6, s6, _Z50ncclDevFunc_AllReduce_RING_SIMPLE_MinMax_f16_0_0_4v@rel32@lo+4
	s_addc_u32 s7, s7, _Z50ncclDevFunc_AllReduce_RING_SIMPLE_MinMax_f16_0_0_4v@rel32@hi+12
	s_swappc_b64 s[30:31], s[6:7]
	s_mov_b64 s[4:5], 0
.LBB2_171:                              ;   in Loop: Header=BB2_84 Depth=1
	s_andn2_b64 vcc, exec, s[4:5]
	s_cbranch_vccnz .LBB2_173
; %bb.172:                              ;   in Loop: Header=BB2_84 Depth=1
	s_add_u32 s8, s36, 0x1000
	s_addc_u32 s9, s37, 0
	s_mov_b64 s[4:5], s[38:39]
	s_mov_b64 s[10:11], s[34:35]
	s_mov_b32 s12, s45
	s_mov_b32 s13, s44
	s_mov_b32 s14, s33
	v_mov_b32_e32 v31, v40
	s_getpc_b64 s[6:7]
	s_add_u32 s6, s6, _Z50ncclDevFunc_AllReduce_RING_SIMPLE_MinMax_u64_0_0_4v@rel32@lo+4
	s_addc_u32 s7, s7, _Z50ncclDevFunc_AllReduce_RING_SIMPLE_MinMax_u64_0_0_4v@rel32@hi+12
	s_swappc_b64 s[30:31], s[6:7]
.LBB2_173:                              ;   in Loop: Header=BB2_84 Depth=1
	s_mov_b64 s[4:5], 0
.LBB2_174:                              ;   in Loop: Header=BB2_84 Depth=1
	s_andn2_b64 vcc, exec, s[4:5]
	s_cbranch_vccnz .LBB2_258
; %bb.175:                              ;   in Loop: Header=BB2_84 Depth=1
	s_cmpk_gt_u32 s53, 0x6e
	s_mov_b64 s[4:5], -1
	s_cbranch_scc0 .LBB2_217
; %bb.176:                              ;   in Loop: Header=BB2_84 Depth=1
	s_cmpk_gt_u32 s53, 0x79
	s_cbranch_scc0 .LBB2_196
; %bb.177:                              ;   in Loop: Header=BB2_84 Depth=1
	s_cmpk_gt_u32 s53, 0x7f
	;; [unrolled: 3-line block ×3, first 2 shown]
	s_cbranch_scc0 .LBB2_184
; %bb.179:                              ;   in Loop: Header=BB2_84 Depth=1
	s_cmpk_lg_i32 s53, 0x83
	s_cbranch_scc0 .LBB2_181
; %bb.180:                              ;   in Loop: Header=BB2_84 Depth=1
	s_add_u32 s8, s36, 0x1000
	s_addc_u32 s9, s37, 0
	s_mov_b64 s[4:5], s[38:39]
	s_mov_b64 s[10:11], s[34:35]
	s_mov_b32 s12, s45
	s_mov_b32 s13, s44
	;; [unrolled: 1-line block ×3, first 2 shown]
	v_mov_b32_e32 v31, v40
	s_getpc_b64 s[6:7]
	s_add_u32 s6, s6, _Z50ncclDevFunc_AllReduce_RING_SIMPLE_MinMax_u32_0_0_4v@rel32@lo+4
	s_addc_u32 s7, s7, _Z50ncclDevFunc_AllReduce_RING_SIMPLE_MinMax_u32_0_0_4v@rel32@hi+12
	s_swappc_b64 s[30:31], s[6:7]
	s_mov_b64 s[4:5], 0
.LBB2_181:                              ;   in Loop: Header=BB2_84 Depth=1
	s_andn2_b64 vcc, exec, s[4:5]
	s_cbranch_vccnz .LBB2_183
; %bb.182:                              ;   in Loop: Header=BB2_84 Depth=1
	s_add_u32 s8, s36, 0x1000
	s_addc_u32 s9, s37, 0
	s_mov_b64 s[4:5], s[38:39]
	s_mov_b64 s[10:11], s[34:35]
	s_mov_b32 s12, s45
	s_mov_b32 s13, s44
	;; [unrolled: 1-line block ×3, first 2 shown]
	v_mov_b32_e32 v31, v40
	s_getpc_b64 s[6:7]
	s_add_u32 s6, s6, _Z49ncclDevFunc_AllReduce_RING_SIMPLE_MinMax_u8_0_0_4v@rel32@lo+4
	s_addc_u32 s7, s7, _Z49ncclDevFunc_AllReduce_RING_SIMPLE_MinMax_u8_0_0_4v@rel32@hi+12
	s_swappc_b64 s[30:31], s[6:7]
.LBB2_183:                              ;   in Loop: Header=BB2_84 Depth=1
	s_mov_b64 s[4:5], 0
.LBB2_184:                              ;   in Loop: Header=BB2_84 Depth=1
	s_andn2_b64 vcc, exec, s[4:5]
	s_cbranch_vccnz .LBB2_186
; %bb.185:                              ;   in Loop: Header=BB2_84 Depth=1
	s_add_u32 s8, s36, 0x1000
	s_addc_u32 s9, s37, 0
	s_mov_b64 s[4:5], s[38:39]
	s_mov_b64 s[10:11], s[34:35]
	s_mov_b32 s12, s45
	s_mov_b32 s13, s44
	;; [unrolled: 1-line block ×3, first 2 shown]
	v_mov_b32_e32 v31, v40
	s_getpc_b64 s[6:7]
	s_add_u32 s6, s6, _Z51ncclDevFunc_AllReduce_RING_SIMPLE_Prod_f8e5m2_0_0_4v@rel32@lo+4
	s_addc_u32 s7, s7, _Z51ncclDevFunc_AllReduce_RING_SIMPLE_Prod_f8e5m2_0_0_4v@rel32@hi+12
	s_swappc_b64 s[30:31], s[6:7]
.LBB2_186:                              ;   in Loop: Header=BB2_84 Depth=1
	s_mov_b64 s[4:5], 0
.LBB2_187:                              ;   in Loop: Header=BB2_84 Depth=1
	s_andn2_b64 vcc, exec, s[4:5]
	s_cbranch_vccnz .LBB2_195
; %bb.188:                              ;   in Loop: Header=BB2_84 Depth=1
	s_cmpk_gt_u32 s53, 0x7c
	s_mov_b64 s[4:5], -1
	s_cbranch_scc0 .LBB2_190
; %bb.189:                              ;   in Loop: Header=BB2_84 Depth=1
	s_add_u32 s8, s36, 0x1000
	s_addc_u32 s9, s37, 0
	s_mov_b64 s[4:5], s[38:39]
	s_mov_b64 s[10:11], s[34:35]
	s_mov_b32 s12, s45
	s_mov_b32 s13, s44
	;; [unrolled: 1-line block ×3, first 2 shown]
	v_mov_b32_e32 v31, v40
	s_getpc_b64 s[6:7]
	s_add_u32 s6, s6, _Z51ncclDevFunc_AllReduce_RING_SIMPLE_Prod_f8e4m3_0_0_4v@rel32@lo+4
	s_addc_u32 s7, s7, _Z51ncclDevFunc_AllReduce_RING_SIMPLE_Prod_f8e4m3_0_0_4v@rel32@hi+12
	s_swappc_b64 s[30:31], s[6:7]
	s_mov_b64 s[4:5], 0
.LBB2_190:                              ;   in Loop: Header=BB2_84 Depth=1
	s_andn2_b64 vcc, exec, s[4:5]
	s_cbranch_vccnz .LBB2_195
; %bb.191:                              ;   in Loop: Header=BB2_84 Depth=1
	s_cmpk_eq_i32 s53, 0x7c
	s_mov_b64 s[4:5], -1
	s_cbranch_scc1 .LBB2_193
; %bb.192:                              ;   in Loop: Header=BB2_84 Depth=1
	s_add_u32 s8, s36, 0x1000
	s_addc_u32 s9, s37, 0
	s_mov_b64 s[4:5], s[38:39]
	s_mov_b64 s[10:11], s[34:35]
	s_mov_b32 s12, s45
	s_mov_b32 s13, s44
	;; [unrolled: 1-line block ×3, first 2 shown]
	v_mov_b32_e32 v31, v40
	s_getpc_b64 s[6:7]
	s_add_u32 s6, s6, _Z49ncclDevFunc_AllReduce_RING_SIMPLE_Prod_bf16_0_0_4v@rel32@lo+4
	s_addc_u32 s7, s7, _Z49ncclDevFunc_AllReduce_RING_SIMPLE_Prod_bf16_0_0_4v@rel32@hi+12
	s_swappc_b64 s[30:31], s[6:7]
	s_mov_b64 s[4:5], 0
.LBB2_193:                              ;   in Loop: Header=BB2_84 Depth=1
	s_andn2_b64 vcc, exec, s[4:5]
	s_cbranch_vccnz .LBB2_195
; %bb.194:                              ;   in Loop: Header=BB2_84 Depth=1
	s_add_u32 s8, s36, 0x1000
	s_addc_u32 s9, s37, 0
	s_mov_b64 s[4:5], s[38:39]
	s_mov_b64 s[10:11], s[34:35]
	s_mov_b32 s12, s45
	s_mov_b32 s13, s44
	;; [unrolled: 1-line block ×3, first 2 shown]
	v_mov_b32_e32 v31, v40
	s_getpc_b64 s[6:7]
	s_add_u32 s6, s6, _Z49ncclDevFunc_AllReduce_RING_SIMPLE_Prod_bf16_0_1_4v@rel32@lo+4
	s_addc_u32 s7, s7, _Z49ncclDevFunc_AllReduce_RING_SIMPLE_Prod_bf16_0_1_4v@rel32@hi+12
	s_swappc_b64 s[30:31], s[6:7]
.LBB2_195:                              ;   in Loop: Header=BB2_84 Depth=1
	s_mov_b64 s[4:5], 0
.LBB2_196:                              ;   in Loop: Header=BB2_84 Depth=1
	s_andn2_b64 vcc, exec, s[4:5]
	s_cbranch_vccnz .LBB2_216
; %bb.197:                              ;   in Loop: Header=BB2_84 Depth=1
	s_cmpk_gt_u32 s53, 0x73
	s_mov_b64 s[4:5], -1
	s_cbranch_scc0 .LBB2_207
; %bb.198:                              ;   in Loop: Header=BB2_84 Depth=1
	s_cmpk_gt_u32 s53, 0x76
	s_cbranch_scc0 .LBB2_204
; %bb.199:                              ;   in Loop: Header=BB2_84 Depth=1
	s_cmpk_lg_i32 s53, 0x77
	s_cbranch_scc0 .LBB2_201
; %bb.200:                              ;   in Loop: Header=BB2_84 Depth=1
	s_add_u32 s8, s36, 0x1000
	s_addc_u32 s9, s37, 0
	s_mov_b64 s[4:5], s[38:39]
	s_mov_b64 s[10:11], s[34:35]
	s_mov_b32 s12, s45
	s_mov_b32 s13, s44
	;; [unrolled: 1-line block ×3, first 2 shown]
	v_mov_b32_e32 v31, v40
	s_getpc_b64 s[6:7]
	s_add_u32 s6, s6, _Z48ncclDevFunc_AllReduce_RING_SIMPLE_Prod_f64_0_0_4v@rel32@lo+4
	s_addc_u32 s7, s7, _Z48ncclDevFunc_AllReduce_RING_SIMPLE_Prod_f64_0_0_4v@rel32@hi+12
	s_swappc_b64 s[30:31], s[6:7]
	s_mov_b64 s[4:5], 0
.LBB2_201:                              ;   in Loop: Header=BB2_84 Depth=1
	s_andn2_b64 vcc, exec, s[4:5]
	s_cbranch_vccnz .LBB2_203
; %bb.202:                              ;   in Loop: Header=BB2_84 Depth=1
	s_add_u32 s8, s36, 0x1000
	s_addc_u32 s9, s37, 0
	s_mov_b64 s[4:5], s[38:39]
	s_mov_b64 s[10:11], s[34:35]
	s_mov_b32 s12, s45
	s_mov_b32 s13, s44
	;; [unrolled: 1-line block ×3, first 2 shown]
	v_mov_b32_e32 v31, v40
	s_getpc_b64 s[6:7]
	s_add_u32 s6, s6, _Z48ncclDevFunc_AllReduce_RING_SIMPLE_Prod_f32_0_0_4v@rel32@lo+4
	s_addc_u32 s7, s7, _Z48ncclDevFunc_AllReduce_RING_SIMPLE_Prod_f32_0_0_4v@rel32@hi+12
	s_swappc_b64 s[30:31], s[6:7]
.LBB2_203:                              ;   in Loop: Header=BB2_84 Depth=1
	s_mov_b64 s[4:5], 0
.LBB2_204:                              ;   in Loop: Header=BB2_84 Depth=1
	s_andn2_b64 vcc, exec, s[4:5]
	s_cbranch_vccnz .LBB2_206
; %bb.205:                              ;   in Loop: Header=BB2_84 Depth=1
	s_add_u32 s8, s36, 0x1000
	s_addc_u32 s9, s37, 0
	s_mov_b64 s[4:5], s[38:39]
	s_mov_b64 s[10:11], s[34:35]
	s_mov_b32 s12, s45
	s_mov_b32 s13, s44
	;; [unrolled: 1-line block ×3, first 2 shown]
	v_mov_b32_e32 v31, v40
	s_getpc_b64 s[6:7]
	s_add_u32 s6, s6, _Z48ncclDevFunc_AllReduce_RING_SIMPLE_Prod_f16_0_0_4v@rel32@lo+4
	s_addc_u32 s7, s7, _Z48ncclDevFunc_AllReduce_RING_SIMPLE_Prod_f16_0_0_4v@rel32@hi+12
	s_swappc_b64 s[30:31], s[6:7]
.LBB2_206:                              ;   in Loop: Header=BB2_84 Depth=1
	s_mov_b64 s[4:5], 0
.LBB2_207:                              ;   in Loop: Header=BB2_84 Depth=1
	s_andn2_b64 vcc, exec, s[4:5]
	s_cbranch_vccnz .LBB2_216
; %bb.208:                              ;   in Loop: Header=BB2_84 Depth=1
	s_cmpk_gt_u32 s53, 0x70
	s_mov_b64 s[4:5], -1
	s_cbranch_scc0 .LBB2_214
; %bb.209:                              ;   in Loop: Header=BB2_84 Depth=1
	s_cmpk_lg_i32 s53, 0x71
	s_cbranch_scc0 .LBB2_211
; %bb.210:                              ;   in Loop: Header=BB2_84 Depth=1
	s_add_u32 s8, s36, 0x1000
	s_addc_u32 s9, s37, 0
	s_mov_b64 s[4:5], s[38:39]
	s_mov_b64 s[10:11], s[34:35]
	s_mov_b32 s12, s45
	s_mov_b32 s13, s44
	;; [unrolled: 1-line block ×3, first 2 shown]
	v_mov_b32_e32 v31, v40
	s_getpc_b64 s[6:7]
	s_add_u32 s6, s6, _Z48ncclDevFunc_AllReduce_RING_SIMPLE_Prod_u64_0_0_4v@rel32@lo+4
	s_addc_u32 s7, s7, _Z48ncclDevFunc_AllReduce_RING_SIMPLE_Prod_u64_0_0_4v@rel32@hi+12
	s_swappc_b64 s[30:31], s[6:7]
	s_mov_b64 s[4:5], 0
.LBB2_211:                              ;   in Loop: Header=BB2_84 Depth=1
	s_andn2_b64 vcc, exec, s[4:5]
	s_cbranch_vccnz .LBB2_213
; %bb.212:                              ;   in Loop: Header=BB2_84 Depth=1
	s_add_u32 s8, s36, 0x1000
	s_addc_u32 s9, s37, 0
	s_mov_b64 s[4:5], s[38:39]
	s_mov_b64 s[10:11], s[34:35]
	s_mov_b32 s12, s45
	s_mov_b32 s13, s44
	;; [unrolled: 1-line block ×3, first 2 shown]
	v_mov_b32_e32 v31, v40
	s_getpc_b64 s[6:7]
	s_add_u32 s6, s6, _Z48ncclDevFunc_AllReduce_RING_SIMPLE_Prod_u32_0_0_4v@rel32@lo+4
	s_addc_u32 s7, s7, _Z48ncclDevFunc_AllReduce_RING_SIMPLE_Prod_u32_0_0_4v@rel32@hi+12
	s_swappc_b64 s[30:31], s[6:7]
.LBB2_213:                              ;   in Loop: Header=BB2_84 Depth=1
	s_mov_b64 s[4:5], 0
.LBB2_214:                              ;   in Loop: Header=BB2_84 Depth=1
	s_andn2_b64 vcc, exec, s[4:5]
	s_cbranch_vccnz .LBB2_216
; %bb.215:                              ;   in Loop: Header=BB2_84 Depth=1
	s_add_u32 s8, s36, 0x1000
	s_addc_u32 s9, s37, 0
	s_mov_b64 s[4:5], s[38:39]
	s_mov_b64 s[10:11], s[34:35]
	s_mov_b32 s12, s45
	s_mov_b32 s13, s44
	;; [unrolled: 1-line block ×3, first 2 shown]
	v_mov_b32_e32 v31, v40
	s_getpc_b64 s[6:7]
	s_add_u32 s6, s6, _Z47ncclDevFunc_AllReduce_RING_SIMPLE_Prod_u8_0_0_4v@rel32@lo+4
	s_addc_u32 s7, s7, _Z47ncclDevFunc_AllReduce_RING_SIMPLE_Prod_u8_0_0_4v@rel32@hi+12
	s_swappc_b64 s[30:31], s[6:7]
.LBB2_216:                              ;   in Loop: Header=BB2_84 Depth=1
	s_mov_b64 s[4:5], 0
.LBB2_217:                              ;   in Loop: Header=BB2_84 Depth=1
	s_andn2_b64 vcc, exec, s[4:5]
	s_cbranch_vccnz .LBB2_258
; %bb.218:                              ;   in Loop: Header=BB2_84 Depth=1
	s_cmpk_gt_u32 s53, 0x63
	s_mov_b64 s[4:5], -1
	s_cbranch_scc0 .LBB2_235
; %bb.219:                              ;   in Loop: Header=BB2_84 Depth=1
	s_cmpk_gt_u32 s53, 0x68
	s_cbranch_scc0 .LBB2_225
; %bb.220:                              ;   in Loop: Header=BB2_84 Depth=1
	s_cmpk_gt_u32 s53, 0x6b
	s_cbranch_scc0 .LBB2_222
; %bb.221:                              ;   in Loop: Header=BB2_84 Depth=1
	s_add_u32 s8, s36, 0x1000
	s_addc_u32 s9, s37, 0
	s_mov_b64 s[4:5], s[38:39]
	s_mov_b64 s[10:11], s[34:35]
	s_mov_b32 s12, s45
	s_mov_b32 s13, s44
	;; [unrolled: 1-line block ×3, first 2 shown]
	v_mov_b32_e32 v31, v40
	s_getpc_b64 s[6:7]
	s_add_u32 s6, s6, _Z50ncclDevFunc_AllReduce_RING_SIMPLE_Sum_f8e5m2_0_0_4v@rel32@lo+4
	s_addc_u32 s7, s7, _Z50ncclDevFunc_AllReduce_RING_SIMPLE_Sum_f8e5m2_0_0_4v@rel32@hi+12
	s_swappc_b64 s[30:31], s[6:7]
	s_mov_b64 s[4:5], 0
.LBB2_222:                              ;   in Loop: Header=BB2_84 Depth=1
	s_andn2_b64 vcc, exec, s[4:5]
	s_cbranch_vccnz .LBB2_224
; %bb.223:                              ;   in Loop: Header=BB2_84 Depth=1
	s_add_u32 s8, s36, 0x1000
	s_addc_u32 s9, s37, 0
	s_mov_b64 s[4:5], s[38:39]
	s_mov_b64 s[10:11], s[34:35]
	s_mov_b32 s12, s45
	s_mov_b32 s13, s44
	;; [unrolled: 1-line block ×3, first 2 shown]
	v_mov_b32_e32 v31, v40
	s_getpc_b64 s[6:7]
	s_add_u32 s6, s6, _Z50ncclDevFunc_AllReduce_RING_SIMPLE_Sum_f8e4m3_0_0_4v@rel32@lo+4
	s_addc_u32 s7, s7, _Z50ncclDevFunc_AllReduce_RING_SIMPLE_Sum_f8e4m3_0_0_4v@rel32@hi+12
	s_swappc_b64 s[30:31], s[6:7]
.LBB2_224:                              ;   in Loop: Header=BB2_84 Depth=1
	s_mov_b64 s[4:5], 0
.LBB2_225:                              ;   in Loop: Header=BB2_84 Depth=1
	s_andn2_b64 vcc, exec, s[4:5]
	s_cbranch_vccnz .LBB2_234
; %bb.226:                              ;   in Loop: Header=BB2_84 Depth=1
	s_cmpk_gt_u32 s53, 0x65
	s_mov_b64 s[4:5], -1
	s_cbranch_scc0 .LBB2_232
; %bb.227:                              ;   in Loop: Header=BB2_84 Depth=1
	s_cmpk_eq_i32 s53, 0x68
	s_cbranch_scc1 .LBB2_229
; %bb.228:                              ;   in Loop: Header=BB2_84 Depth=1
	s_add_u32 s8, s36, 0x1000
	s_addc_u32 s9, s37, 0
	s_mov_b64 s[4:5], s[38:39]
	s_mov_b64 s[10:11], s[34:35]
	s_mov_b32 s12, s45
	s_mov_b32 s13, s44
	s_mov_b32 s14, s33
	v_mov_b32_e32 v31, v40
	s_getpc_b64 s[6:7]
	s_add_u32 s6, s6, _Z48ncclDevFunc_AllReduce_RING_SIMPLE_Sum_bf16_0_0_4v@rel32@lo+4
	s_addc_u32 s7, s7, _Z48ncclDevFunc_AllReduce_RING_SIMPLE_Sum_bf16_0_0_4v@rel32@hi+12
	s_swappc_b64 s[30:31], s[6:7]
	s_mov_b64 s[4:5], 0
.LBB2_229:                              ;   in Loop: Header=BB2_84 Depth=1
	s_andn2_b64 vcc, exec, s[4:5]
	s_cbranch_vccnz .LBB2_231
; %bb.230:                              ;   in Loop: Header=BB2_84 Depth=1
	s_add_u32 s8, s36, 0x1000
	s_addc_u32 s9, s37, 0
	s_mov_b64 s[4:5], s[38:39]
	s_mov_b64 s[10:11], s[34:35]
	s_mov_b32 s12, s45
	s_mov_b32 s13, s44
	;; [unrolled: 1-line block ×3, first 2 shown]
	v_mov_b32_e32 v31, v40
	s_getpc_b64 s[6:7]
	s_add_u32 s6, s6, _Z48ncclDevFunc_AllReduce_RING_SIMPLE_Sum_bf16_0_1_4v@rel32@lo+4
	s_addc_u32 s7, s7, _Z48ncclDevFunc_AllReduce_RING_SIMPLE_Sum_bf16_0_1_4v@rel32@hi+12
	s_swappc_b64 s[30:31], s[6:7]
.LBB2_231:                              ;   in Loop: Header=BB2_84 Depth=1
	s_mov_b64 s[4:5], 0
.LBB2_232:                              ;   in Loop: Header=BB2_84 Depth=1
	s_andn2_b64 vcc, exec, s[4:5]
	s_cbranch_vccnz .LBB2_234
; %bb.233:                              ;   in Loop: Header=BB2_84 Depth=1
	s_add_u32 s8, s36, 0x1000
	s_addc_u32 s9, s37, 0
	s_mov_b64 s[4:5], s[38:39]
	s_mov_b64 s[10:11], s[34:35]
	s_mov_b32 s12, s45
	s_mov_b32 s13, s44
	;; [unrolled: 1-line block ×3, first 2 shown]
	v_mov_b32_e32 v31, v40
	s_getpc_b64 s[6:7]
	s_add_u32 s6, s6, _Z47ncclDevFunc_AllReduce_RING_SIMPLE_Sum_f64_0_0_4v@rel32@lo+4
	s_addc_u32 s7, s7, _Z47ncclDevFunc_AllReduce_RING_SIMPLE_Sum_f64_0_0_4v@rel32@hi+12
	s_swappc_b64 s[30:31], s[6:7]
.LBB2_234:                              ;   in Loop: Header=BB2_84 Depth=1
	s_mov_b64 s[4:5], 0
.LBB2_235:                              ;   in Loop: Header=BB2_84 Depth=1
	s_andn2_b64 vcc, exec, s[4:5]
	s_cbranch_vccnz .LBB2_258
; %bb.236:                              ;   in Loop: Header=BB2_84 Depth=1
	s_cmpk_gt_u32 s53, 0x5d
	s_mov_b64 s[4:5], -1
	s_cbranch_scc0 .LBB2_246
; %bb.237:                              ;   in Loop: Header=BB2_84 Depth=1
	s_cmpk_gt_u32 s53, 0x60
	s_cbranch_scc0 .LBB2_243
; %bb.238:                              ;   in Loop: Header=BB2_84 Depth=1
	s_cmpk_lg_i32 s53, 0x61
	s_cbranch_scc0 .LBB2_240
; %bb.239:                              ;   in Loop: Header=BB2_84 Depth=1
	s_add_u32 s8, s36, 0x1000
	s_addc_u32 s9, s37, 0
	s_mov_b64 s[4:5], s[38:39]
	s_mov_b64 s[10:11], s[34:35]
	s_mov_b32 s12, s45
	s_mov_b32 s13, s44
	;; [unrolled: 1-line block ×3, first 2 shown]
	v_mov_b32_e32 v31, v40
	s_getpc_b64 s[6:7]
	s_add_u32 s6, s6, _Z47ncclDevFunc_AllReduce_RING_SIMPLE_Sum_f32_0_0_4v@rel32@lo+4
	s_addc_u32 s7, s7, _Z47ncclDevFunc_AllReduce_RING_SIMPLE_Sum_f32_0_0_4v@rel32@hi+12
	s_swappc_b64 s[30:31], s[6:7]
	s_mov_b64 s[4:5], 0
.LBB2_240:                              ;   in Loop: Header=BB2_84 Depth=1
	s_andn2_b64 vcc, exec, s[4:5]
	s_cbranch_vccnz .LBB2_242
; %bb.241:                              ;   in Loop: Header=BB2_84 Depth=1
	s_add_u32 s8, s36, 0x1000
	s_addc_u32 s9, s37, 0
	s_mov_b64 s[4:5], s[38:39]
	s_mov_b64 s[10:11], s[34:35]
	s_mov_b32 s12, s45
	s_mov_b32 s13, s44
	;; [unrolled: 1-line block ×3, first 2 shown]
	v_mov_b32_e32 v31, v40
	s_getpc_b64 s[6:7]
	s_add_u32 s6, s6, _Z47ncclDevFunc_AllReduce_RING_SIMPLE_Sum_f16_0_0_4v@rel32@lo+4
	s_addc_u32 s7, s7, _Z47ncclDevFunc_AllReduce_RING_SIMPLE_Sum_f16_0_0_4v@rel32@hi+12
	s_swappc_b64 s[30:31], s[6:7]
.LBB2_242:                              ;   in Loop: Header=BB2_84 Depth=1
	s_mov_b64 s[4:5], 0
.LBB2_243:                              ;   in Loop: Header=BB2_84 Depth=1
	s_andn2_b64 vcc, exec, s[4:5]
	s_cbranch_vccnz .LBB2_245
; %bb.244:                              ;   in Loop: Header=BB2_84 Depth=1
	s_add_u32 s8, s36, 0x1000
	s_addc_u32 s9, s37, 0
	s_mov_b64 s[4:5], s[38:39]
	s_mov_b64 s[10:11], s[34:35]
	s_mov_b32 s12, s45
	s_mov_b32 s13, s44
	;; [unrolled: 1-line block ×3, first 2 shown]
	v_mov_b32_e32 v31, v40
	s_getpc_b64 s[6:7]
	s_add_u32 s6, s6, _Z47ncclDevFunc_AllReduce_RING_SIMPLE_Sum_u64_0_0_4v@rel32@lo+4
	s_addc_u32 s7, s7, _Z47ncclDevFunc_AllReduce_RING_SIMPLE_Sum_u64_0_0_4v@rel32@hi+12
	s_swappc_b64 s[30:31], s[6:7]
.LBB2_245:                              ;   in Loop: Header=BB2_84 Depth=1
	s_mov_b64 s[4:5], 0
.LBB2_246:                              ;   in Loop: Header=BB2_84 Depth=1
	s_andn2_b64 vcc, exec, s[4:5]
	s_cbranch_vccnz .LBB2_258
; %bb.247:                              ;   in Loop: Header=BB2_84 Depth=1
	s_cmpk_gt_u32 s53, 0x5a
	s_mov_b64 s[4:5], -1
	s_cbranch_scc0 .LBB2_253
; %bb.248:                              ;   in Loop: Header=BB2_84 Depth=1
	s_cmpk_lg_i32 s53, 0x5b
	s_cbranch_scc0 .LBB2_250
; %bb.249:                              ;   in Loop: Header=BB2_84 Depth=1
	s_add_u32 s8, s36, 0x1000
	s_addc_u32 s9, s37, 0
	s_mov_b64 s[4:5], s[38:39]
	s_mov_b64 s[10:11], s[34:35]
	s_mov_b32 s12, s45
	s_mov_b32 s13, s44
	;; [unrolled: 1-line block ×3, first 2 shown]
	v_mov_b32_e32 v31, v40
	s_getpc_b64 s[6:7]
	s_add_u32 s6, s6, _Z47ncclDevFunc_AllReduce_RING_SIMPLE_Sum_u32_0_0_4v@rel32@lo+4
	s_addc_u32 s7, s7, _Z47ncclDevFunc_AllReduce_RING_SIMPLE_Sum_u32_0_0_4v@rel32@hi+12
	s_swappc_b64 s[30:31], s[6:7]
	s_mov_b64 s[4:5], 0
.LBB2_250:                              ;   in Loop: Header=BB2_84 Depth=1
	s_andn2_b64 vcc, exec, s[4:5]
	s_cbranch_vccnz .LBB2_252
; %bb.251:                              ;   in Loop: Header=BB2_84 Depth=1
	s_add_u32 s8, s36, 0x1000
	s_addc_u32 s9, s37, 0
	s_mov_b64 s[4:5], s[38:39]
	s_mov_b64 s[10:11], s[34:35]
	s_mov_b32 s12, s45
	s_mov_b32 s13, s44
	;; [unrolled: 1-line block ×3, first 2 shown]
	v_mov_b32_e32 v31, v40
	s_getpc_b64 s[6:7]
	s_add_u32 s6, s6, _Z46ncclDevFunc_AllReduce_RING_SIMPLE_Sum_u8_0_0_4v@rel32@lo+4
	s_addc_u32 s7, s7, _Z46ncclDevFunc_AllReduce_RING_SIMPLE_Sum_u8_0_0_4v@rel32@hi+12
	s_swappc_b64 s[30:31], s[6:7]
.LBB2_252:                              ;   in Loop: Header=BB2_84 Depth=1
	s_mov_b64 s[4:5], 0
.LBB2_253:                              ;   in Loop: Header=BB2_84 Depth=1
	s_andn2_b64 vcc, exec, s[4:5]
	s_cbranch_vccnz .LBB2_258
; %bb.254:                              ;   in Loop: Header=BB2_84 Depth=1
	s_cmpk_eq_i32 s53, 0x5a
	s_mov_b64 s[4:5], -1
	s_cbranch_scc1 .LBB2_256
; %bb.255:                              ;   in Loop: Header=BB2_84 Depth=1
	s_add_u32 s8, s36, 0x1000
	s_addc_u32 s9, s37, 0
	s_mov_b64 s[4:5], s[38:39]
	s_mov_b64 s[10:11], s[34:35]
	s_mov_b32 s12, s45
	s_mov_b32 s13, s44
	;; [unrolled: 1-line block ×3, first 2 shown]
	v_mov_b32_e32 v31, v40
	s_getpc_b64 s[6:7]
	s_add_u32 s6, s6, _Z54ncclDevFunc_ReduceScatter_RING_LL_SumPostDiv_u32_0_0_4v@rel32@lo+4
	s_addc_u32 s7, s7, _Z54ncclDevFunc_ReduceScatter_RING_LL_SumPostDiv_u32_0_0_4v@rel32@hi+12
	s_swappc_b64 s[30:31], s[6:7]
	s_mov_b64 s[4:5], 0
.LBB2_256:                              ;   in Loop: Header=BB2_84 Depth=1
	s_andn2_b64 vcc, exec, s[4:5]
	s_cbranch_vccnz .LBB2_258
; %bb.257:                              ;   in Loop: Header=BB2_84 Depth=1
	s_add_u32 s8, s36, 0x1000
	s_addc_u32 s9, s37, 0
	s_mov_b64 s[4:5], s[38:39]
	s_mov_b64 s[10:11], s[34:35]
	s_mov_b32 s12, s45
	s_mov_b32 s13, s44
	;; [unrolled: 1-line block ×3, first 2 shown]
	v_mov_b32_e32 v31, v40
	s_getpc_b64 s[6:7]
	s_add_u32 s6, s6, _Z54ncclDevFunc_ReduceScatter_RING_LL_SumPostDiv_u64_0_0_4v@rel32@lo+4
	s_addc_u32 s7, s7, _Z54ncclDevFunc_ReduceScatter_RING_LL_SumPostDiv_u64_0_0_4v@rel32@hi+12
	s_swappc_b64 s[30:31], s[6:7]
.LBB2_258:                              ;   in Loop: Header=BB2_84 Depth=1
	s_mov_b64 s[4:5], 0
.LBB2_259:                              ;   in Loop: Header=BB2_84 Depth=1
	s_andn2_b64 vcc, exec, s[4:5]
	s_cbranch_vccnz .LBB2_570
; %bb.260:                              ;   in Loop: Header=BB2_84 Depth=1
	s_cmp_gt_u32 s53, 43
	s_mov_b64 s[4:5], -1
	s_cbranch_scc0 .LBB2_415
; %bb.261:                              ;   in Loop: Header=BB2_84 Depth=1
	s_cmpk_gt_u32 s53, 0x41
	s_cbranch_scc0 .LBB2_344
; %bb.262:                              ;   in Loop: Header=BB2_84 Depth=1
	s_cmpk_gt_u32 s53, 0x4c
	;; [unrolled: 3-line block ×4, first 2 shown]
	s_cbranch_scc0 .LBB2_274
; %bb.265:                              ;   in Loop: Header=BB2_84 Depth=1
	v_cmp_lt_i16_e32 vcc, s53, v58
	s_cbranch_vccnz .LBB2_271
; %bb.266:                              ;   in Loop: Header=BB2_84 Depth=1
	v_cmp_ne_u16_e32 vcc, s53, v58
	s_cbranch_vccz .LBB2_268
; %bb.267:                              ;   in Loop: Header=BB2_84 Depth=1
	s_add_u32 s8, s36, 0x1000
	s_addc_u32 s9, s37, 0
	s_mov_b64 s[4:5], s[38:39]
	s_mov_b64 s[10:11], s[34:35]
	s_mov_b32 s12, s45
	s_mov_b32 s13, s44
	;; [unrolled: 1-line block ×3, first 2 shown]
	v_mov_b32_e32 v31, v40
	s_getpc_b64 s[6:7]
	s_add_u32 s6, s6, _Z53ncclDevFunc_ReduceScatter_RING_LL_SumPostDiv_u8_0_0_4v@rel32@lo+4
	s_addc_u32 s7, s7, _Z53ncclDevFunc_ReduceScatter_RING_LL_SumPostDiv_u8_0_0_4v@rel32@hi+12
	s_swappc_b64 s[30:31], s[6:7]
	s_mov_b64 s[4:5], 0
.LBB2_268:                              ;   in Loop: Header=BB2_84 Depth=1
	s_andn2_b64 vcc, exec, s[4:5]
	s_cbranch_vccnz .LBB2_270
; %bb.269:                              ;   in Loop: Header=BB2_84 Depth=1
	s_add_u32 s8, s36, 0x1000
	s_addc_u32 s9, s37, 0
	s_mov_b64 s[4:5], s[38:39]
	s_mov_b64 s[10:11], s[34:35]
	s_mov_b32 s12, s45
	s_mov_b32 s13, s44
	;; [unrolled: 1-line block ×3, first 2 shown]
	v_mov_b32_e32 v31, v40
	s_getpc_b64 s[6:7]
	s_add_u32 s6, s6, _Z56ncclDevFunc_ReduceScatter_RING_LL_PreMulSum_f8e5m2_0_0_4v@rel32@lo+4
	s_addc_u32 s7, s7, _Z56ncclDevFunc_ReduceScatter_RING_LL_PreMulSum_f8e5m2_0_0_4v@rel32@hi+12
	s_swappc_b64 s[30:31], s[6:7]
.LBB2_270:                              ;   in Loop: Header=BB2_84 Depth=1
	s_mov_b64 s[4:5], 0
.LBB2_271:                              ;   in Loop: Header=BB2_84 Depth=1
	s_andn2_b64 vcc, exec, s[4:5]
	s_cbranch_vccnz .LBB2_273
; %bb.272:                              ;   in Loop: Header=BB2_84 Depth=1
	s_add_u32 s8, s36, 0x1000
	s_addc_u32 s9, s37, 0
	s_mov_b64 s[4:5], s[38:39]
	s_mov_b64 s[10:11], s[34:35]
	s_mov_b32 s12, s45
	s_mov_b32 s13, s44
	;; [unrolled: 1-line block ×3, first 2 shown]
	v_mov_b32_e32 v31, v40
	s_getpc_b64 s[6:7]
	s_add_u32 s6, s6, _Z56ncclDevFunc_ReduceScatter_RING_LL_PreMulSum_f8e4m3_0_0_4v@rel32@lo+4
	s_addc_u32 s7, s7, _Z56ncclDevFunc_ReduceScatter_RING_LL_PreMulSum_f8e4m3_0_0_4v@rel32@hi+12
	s_swappc_b64 s[30:31], s[6:7]
.LBB2_273:                              ;   in Loop: Header=BB2_84 Depth=1
	s_mov_b64 s[4:5], 0
.LBB2_274:                              ;   in Loop: Header=BB2_84 Depth=1
	s_and_b64 vcc, exec, s[4:5]
	s_cbranch_vccz .LBB2_283
; %bb.275:                              ;   in Loop: Header=BB2_84 Depth=1
	v_cmp_lt_i16_e32 vcc, s53, v59
	s_mov_b64 s[4:5], -1
	s_cbranch_vccnz .LBB2_281
; %bb.276:                              ;   in Loop: Header=BB2_84 Depth=1
	v_cmp_ne_u16_e32 vcc, s53, v59
	s_cbranch_vccz .LBB2_278
; %bb.277:                              ;   in Loop: Header=BB2_84 Depth=1
	s_add_u32 s8, s36, 0x1000
	s_addc_u32 s9, s37, 0
	s_mov_b64 s[4:5], s[38:39]
	s_mov_b64 s[10:11], s[34:35]
	s_mov_b32 s12, s45
	s_mov_b32 s13, s44
	;; [unrolled: 1-line block ×3, first 2 shown]
	v_mov_b32_e32 v31, v40
	s_getpc_b64 s[6:7]
	s_add_u32 s6, s6, _Z54ncclDevFunc_ReduceScatter_RING_LL_PreMulSum_bf16_0_0_4v@rel32@lo+4
	s_addc_u32 s7, s7, _Z54ncclDevFunc_ReduceScatter_RING_LL_PreMulSum_bf16_0_0_4v@rel32@hi+12
	s_swappc_b64 s[30:31], s[6:7]
	s_mov_b64 s[4:5], 0
.LBB2_278:                              ;   in Loop: Header=BB2_84 Depth=1
	s_andn2_b64 vcc, exec, s[4:5]
	s_cbranch_vccnz .LBB2_280
; %bb.279:                              ;   in Loop: Header=BB2_84 Depth=1
	s_add_u32 s8, s36, 0x1000
	s_addc_u32 s9, s37, 0
	s_mov_b64 s[4:5], s[38:39]
	s_mov_b64 s[10:11], s[34:35]
	s_mov_b32 s12, s45
	s_mov_b32 s13, s44
	;; [unrolled: 1-line block ×3, first 2 shown]
	v_mov_b32_e32 v31, v40
	s_getpc_b64 s[6:7]
	s_add_u32 s6, s6, _Z53ncclDevFunc_ReduceScatter_RING_LL_PreMulSum_f64_0_0_4v@rel32@lo+4
	s_addc_u32 s7, s7, _Z53ncclDevFunc_ReduceScatter_RING_LL_PreMulSum_f64_0_0_4v@rel32@hi+12
	s_swappc_b64 s[30:31], s[6:7]
.LBB2_280:                              ;   in Loop: Header=BB2_84 Depth=1
	s_mov_b64 s[4:5], 0
.LBB2_281:                              ;   in Loop: Header=BB2_84 Depth=1
	s_andn2_b64 vcc, exec, s[4:5]
	s_cbranch_vccnz .LBB2_283
; %bb.282:                              ;   in Loop: Header=BB2_84 Depth=1
	s_add_u32 s8, s36, 0x1000
	s_addc_u32 s9, s37, 0
	s_mov_b64 s[4:5], s[38:39]
	s_mov_b64 s[10:11], s[34:35]
	s_mov_b32 s12, s45
	s_mov_b32 s13, s44
	;; [unrolled: 1-line block ×3, first 2 shown]
	v_mov_b32_e32 v31, v40
	s_getpc_b64 s[6:7]
	s_add_u32 s6, s6, _Z53ncclDevFunc_ReduceScatter_RING_LL_PreMulSum_f32_0_0_4v@rel32@lo+4
	s_addc_u32 s7, s7, _Z53ncclDevFunc_ReduceScatter_RING_LL_PreMulSum_f32_0_0_4v@rel32@hi+12
	s_swappc_b64 s[30:31], s[6:7]
.LBB2_283:                              ;   in Loop: Header=BB2_84 Depth=1
	s_mov_b64 s[4:5], 0
.LBB2_284:                              ;   in Loop: Header=BB2_84 Depth=1
	s_andn2_b64 vcc, exec, s[4:5]
	s_cbranch_vccnz .LBB2_304
; %bb.285:                              ;   in Loop: Header=BB2_84 Depth=1
	s_cmpk_gt_u32 s53, 0x4f
	s_mov_b64 s[4:5], -1
	s_cbranch_scc0 .LBB2_295
; %bb.286:                              ;   in Loop: Header=BB2_84 Depth=1
	v_cmp_lt_i16_e32 vcc, s53, v60
	s_cbranch_vccnz .LBB2_292
; %bb.287:                              ;   in Loop: Header=BB2_84 Depth=1
	v_cmp_ne_u16_e32 vcc, s53, v60
	s_cbranch_vccz .LBB2_289
; %bb.288:                              ;   in Loop: Header=BB2_84 Depth=1
	s_add_u32 s8, s36, 0x1000
	s_addc_u32 s9, s37, 0
	s_mov_b64 s[4:5], s[38:39]
	s_mov_b64 s[10:11], s[34:35]
	s_mov_b32 s12, s45
	s_mov_b32 s13, s44
	;; [unrolled: 1-line block ×3, first 2 shown]
	v_mov_b32_e32 v31, v40
	s_getpc_b64 s[6:7]
	s_add_u32 s6, s6, _Z53ncclDevFunc_ReduceScatter_RING_LL_PreMulSum_f16_0_0_4v@rel32@lo+4
	s_addc_u32 s7, s7, _Z53ncclDevFunc_ReduceScatter_RING_LL_PreMulSum_f16_0_0_4v@rel32@hi+12
	s_swappc_b64 s[30:31], s[6:7]
	s_mov_b64 s[4:5], 0
.LBB2_289:                              ;   in Loop: Header=BB2_84 Depth=1
	s_andn2_b64 vcc, exec, s[4:5]
	s_cbranch_vccnz .LBB2_291
; %bb.290:                              ;   in Loop: Header=BB2_84 Depth=1
	s_add_u32 s8, s36, 0x1000
	s_addc_u32 s9, s37, 0
	s_mov_b64 s[4:5], s[38:39]
	s_mov_b64 s[10:11], s[34:35]
	s_mov_b32 s12, s45
	s_mov_b32 s13, s44
	;; [unrolled: 1-line block ×3, first 2 shown]
	v_mov_b32_e32 v31, v40
	s_getpc_b64 s[6:7]
	s_add_u32 s6, s6, _Z53ncclDevFunc_ReduceScatter_RING_LL_PreMulSum_u64_0_0_4v@rel32@lo+4
	s_addc_u32 s7, s7, _Z53ncclDevFunc_ReduceScatter_RING_LL_PreMulSum_u64_0_0_4v@rel32@hi+12
	s_swappc_b64 s[30:31], s[6:7]
.LBB2_291:                              ;   in Loop: Header=BB2_84 Depth=1
	s_mov_b64 s[4:5], 0
.LBB2_292:                              ;   in Loop: Header=BB2_84 Depth=1
	s_andn2_b64 vcc, exec, s[4:5]
	s_cbranch_vccnz .LBB2_294
; %bb.293:                              ;   in Loop: Header=BB2_84 Depth=1
	s_add_u32 s8, s36, 0x1000
	s_addc_u32 s9, s37, 0
	s_mov_b64 s[4:5], s[38:39]
	s_mov_b64 s[10:11], s[34:35]
	s_mov_b32 s12, s45
	s_mov_b32 s13, s44
	;; [unrolled: 1-line block ×3, first 2 shown]
	v_mov_b32_e32 v31, v40
	s_getpc_b64 s[6:7]
	s_add_u32 s6, s6, _Z53ncclDevFunc_ReduceScatter_RING_LL_PreMulSum_u32_0_0_4v@rel32@lo+4
	s_addc_u32 s7, s7, _Z53ncclDevFunc_ReduceScatter_RING_LL_PreMulSum_u32_0_0_4v@rel32@hi+12
	s_swappc_b64 s[30:31], s[6:7]
.LBB2_294:                              ;   in Loop: Header=BB2_84 Depth=1
	s_mov_b64 s[4:5], 0
.LBB2_295:                              ;   in Loop: Header=BB2_84 Depth=1
	s_and_b64 vcc, exec, s[4:5]
	s_cbranch_vccz .LBB2_304
; %bb.296:                              ;   in Loop: Header=BB2_84 Depth=1
	v_cmp_lt_i16_e32 vcc, s53, v61
	s_mov_b64 s[4:5], -1
	s_cbranch_vccnz .LBB2_302
; %bb.297:                              ;   in Loop: Header=BB2_84 Depth=1
	v_cmp_ne_u16_e32 vcc, s53, v61
	s_cbranch_vccz .LBB2_299
; %bb.298:                              ;   in Loop: Header=BB2_84 Depth=1
	s_add_u32 s8, s36, 0x1000
	s_addc_u32 s9, s37, 0
	s_mov_b64 s[4:5], s[38:39]
	s_mov_b64 s[10:11], s[34:35]
	s_mov_b32 s12, s45
	s_mov_b32 s13, s44
	;; [unrolled: 1-line block ×3, first 2 shown]
	v_mov_b32_e32 v31, v40
	s_getpc_b64 s[6:7]
	s_add_u32 s6, s6, _Z52ncclDevFunc_ReduceScatter_RING_LL_PreMulSum_u8_0_0_4v@rel32@lo+4
	s_addc_u32 s7, s7, _Z52ncclDevFunc_ReduceScatter_RING_LL_PreMulSum_u8_0_0_4v@rel32@hi+12
	s_swappc_b64 s[30:31], s[6:7]
	s_mov_b64 s[4:5], 0
.LBB2_299:                              ;   in Loop: Header=BB2_84 Depth=1
	s_andn2_b64 vcc, exec, s[4:5]
	s_cbranch_vccnz .LBB2_301
; %bb.300:                              ;   in Loop: Header=BB2_84 Depth=1
	s_add_u32 s8, s36, 0x1000
	s_addc_u32 s9, s37, 0
	s_mov_b64 s[4:5], s[38:39]
	s_mov_b64 s[10:11], s[34:35]
	s_mov_b32 s12, s45
	s_mov_b32 s13, s44
	;; [unrolled: 1-line block ×3, first 2 shown]
	v_mov_b32_e32 v31, v40
	s_getpc_b64 s[6:7]
	s_add_u32 s6, s6, _Z53ncclDevFunc_ReduceScatter_RING_LL_MinMax_f8e5m2_0_0_4v@rel32@lo+4
	s_addc_u32 s7, s7, _Z53ncclDevFunc_ReduceScatter_RING_LL_MinMax_f8e5m2_0_0_4v@rel32@hi+12
	s_swappc_b64 s[30:31], s[6:7]
.LBB2_301:                              ;   in Loop: Header=BB2_84 Depth=1
	s_mov_b64 s[4:5], 0
.LBB2_302:                              ;   in Loop: Header=BB2_84 Depth=1
	s_andn2_b64 vcc, exec, s[4:5]
	s_cbranch_vccnz .LBB2_304
; %bb.303:                              ;   in Loop: Header=BB2_84 Depth=1
	s_add_u32 s8, s36, 0x1000
	s_addc_u32 s9, s37, 0
	s_mov_b64 s[4:5], s[38:39]
	s_mov_b64 s[10:11], s[34:35]
	s_mov_b32 s12, s45
	s_mov_b32 s13, s44
	s_mov_b32 s14, s33
	v_mov_b32_e32 v31, v40
	s_getpc_b64 s[6:7]
	s_add_u32 s6, s6, _Z53ncclDevFunc_ReduceScatter_RING_LL_MinMax_f8e4m3_0_0_4v@rel32@lo+4
	s_addc_u32 s7, s7, _Z53ncclDevFunc_ReduceScatter_RING_LL_MinMax_f8e4m3_0_0_4v@rel32@hi+12
	s_swappc_b64 s[30:31], s[6:7]
.LBB2_304:                              ;   in Loop: Header=BB2_84 Depth=1
	s_mov_b64 s[4:5], 0
.LBB2_305:                              ;   in Loop: Header=BB2_84 Depth=1
	s_andn2_b64 vcc, exec, s[4:5]
	s_cbranch_vccnz .LBB2_343
; %bb.306:                              ;   in Loop: Header=BB2_84 Depth=1
	s_cmpk_gt_u32 s53, 0x46
	s_mov_b64 s[4:5], -1
	s_cbranch_scc0 .LBB2_327
; %bb.307:                              ;   in Loop: Header=BB2_84 Depth=1
	s_cmpk_gt_u32 s53, 0x49
	s_cbranch_scc0 .LBB2_317
; %bb.308:                              ;   in Loop: Header=BB2_84 Depth=1
	v_cmp_lt_i16_e32 vcc, s53, v62
	s_cbranch_vccnz .LBB2_314
; %bb.309:                              ;   in Loop: Header=BB2_84 Depth=1
	v_cmp_ne_u16_e32 vcc, s53, v62
	s_cbranch_vccz .LBB2_311
; %bb.310:                              ;   in Loop: Header=BB2_84 Depth=1
	s_add_u32 s8, s36, 0x1000
	s_addc_u32 s9, s37, 0
	s_mov_b64 s[4:5], s[38:39]
	s_mov_b64 s[10:11], s[34:35]
	s_mov_b32 s12, s45
	s_mov_b32 s13, s44
	s_mov_b32 s14, s33
	v_mov_b32_e32 v31, v40
	s_getpc_b64 s[6:7]
	s_add_u32 s6, s6, _Z51ncclDevFunc_ReduceScatter_RING_LL_MinMax_bf16_0_0_4v@rel32@lo+4
	s_addc_u32 s7, s7, _Z51ncclDevFunc_ReduceScatter_RING_LL_MinMax_bf16_0_0_4v@rel32@hi+12
	s_swappc_b64 s[30:31], s[6:7]
	s_mov_b64 s[4:5], 0
.LBB2_311:                              ;   in Loop: Header=BB2_84 Depth=1
	s_andn2_b64 vcc, exec, s[4:5]
	s_cbranch_vccnz .LBB2_313
; %bb.312:                              ;   in Loop: Header=BB2_84 Depth=1
	s_add_u32 s8, s36, 0x1000
	s_addc_u32 s9, s37, 0
	s_mov_b64 s[4:5], s[38:39]
	s_mov_b64 s[10:11], s[34:35]
	s_mov_b32 s12, s45
	s_mov_b32 s13, s44
	;; [unrolled: 1-line block ×3, first 2 shown]
	v_mov_b32_e32 v31, v40
	s_getpc_b64 s[6:7]
	s_add_u32 s6, s6, _Z50ncclDevFunc_ReduceScatter_RING_LL_MinMax_f64_0_0_4v@rel32@lo+4
	s_addc_u32 s7, s7, _Z50ncclDevFunc_ReduceScatter_RING_LL_MinMax_f64_0_0_4v@rel32@hi+12
	s_swappc_b64 s[30:31], s[6:7]
.LBB2_313:                              ;   in Loop: Header=BB2_84 Depth=1
	s_mov_b64 s[4:5], 0
.LBB2_314:                              ;   in Loop: Header=BB2_84 Depth=1
	s_andn2_b64 vcc, exec, s[4:5]
	s_cbranch_vccnz .LBB2_316
; %bb.315:                              ;   in Loop: Header=BB2_84 Depth=1
	s_add_u32 s8, s36, 0x1000
	s_addc_u32 s9, s37, 0
	s_mov_b64 s[4:5], s[38:39]
	s_mov_b64 s[10:11], s[34:35]
	s_mov_b32 s12, s45
	s_mov_b32 s13, s44
	;; [unrolled: 1-line block ×3, first 2 shown]
	v_mov_b32_e32 v31, v40
	s_getpc_b64 s[6:7]
	s_add_u32 s6, s6, _Z50ncclDevFunc_ReduceScatter_RING_LL_MinMax_f32_0_0_4v@rel32@lo+4
	s_addc_u32 s7, s7, _Z50ncclDevFunc_ReduceScatter_RING_LL_MinMax_f32_0_0_4v@rel32@hi+12
	s_swappc_b64 s[30:31], s[6:7]
.LBB2_316:                              ;   in Loop: Header=BB2_84 Depth=1
	s_mov_b64 s[4:5], 0
.LBB2_317:                              ;   in Loop: Header=BB2_84 Depth=1
	s_and_b64 vcc, exec, s[4:5]
	s_cbranch_vccz .LBB2_326
; %bb.318:                              ;   in Loop: Header=BB2_84 Depth=1
	v_cmp_lt_i16_e32 vcc, s53, v63
	s_mov_b64 s[4:5], -1
	s_cbranch_vccnz .LBB2_324
; %bb.319:                              ;   in Loop: Header=BB2_84 Depth=1
	v_cmp_ne_u16_e32 vcc, s53, v63
	s_cbranch_vccz .LBB2_321
; %bb.320:                              ;   in Loop: Header=BB2_84 Depth=1
	s_add_u32 s8, s36, 0x1000
	s_addc_u32 s9, s37, 0
	s_mov_b64 s[4:5], s[38:39]
	s_mov_b64 s[10:11], s[34:35]
	s_mov_b32 s12, s45
	s_mov_b32 s13, s44
	s_mov_b32 s14, s33
	v_mov_b32_e32 v31, v40
	s_getpc_b64 s[6:7]
	s_add_u32 s6, s6, _Z50ncclDevFunc_ReduceScatter_RING_LL_MinMax_f16_0_0_4v@rel32@lo+4
	s_addc_u32 s7, s7, _Z50ncclDevFunc_ReduceScatter_RING_LL_MinMax_f16_0_0_4v@rel32@hi+12
	s_swappc_b64 s[30:31], s[6:7]
	s_mov_b64 s[4:5], 0
.LBB2_321:                              ;   in Loop: Header=BB2_84 Depth=1
	s_andn2_b64 vcc, exec, s[4:5]
	s_cbranch_vccnz .LBB2_323
; %bb.322:                              ;   in Loop: Header=BB2_84 Depth=1
	s_add_u32 s8, s36, 0x1000
	s_addc_u32 s9, s37, 0
	s_mov_b64 s[4:5], s[38:39]
	s_mov_b64 s[10:11], s[34:35]
	s_mov_b32 s12, s45
	s_mov_b32 s13, s44
	;; [unrolled: 1-line block ×3, first 2 shown]
	v_mov_b32_e32 v31, v40
	s_getpc_b64 s[6:7]
	s_add_u32 s6, s6, _Z50ncclDevFunc_ReduceScatter_RING_LL_MinMax_u64_0_0_4v@rel32@lo+4
	s_addc_u32 s7, s7, _Z50ncclDevFunc_ReduceScatter_RING_LL_MinMax_u64_0_0_4v@rel32@hi+12
	s_swappc_b64 s[30:31], s[6:7]
.LBB2_323:                              ;   in Loop: Header=BB2_84 Depth=1
	s_mov_b64 s[4:5], 0
.LBB2_324:                              ;   in Loop: Header=BB2_84 Depth=1
	s_andn2_b64 vcc, exec, s[4:5]
	s_cbranch_vccnz .LBB2_326
; %bb.325:                              ;   in Loop: Header=BB2_84 Depth=1
	s_add_u32 s8, s36, 0x1000
	s_addc_u32 s9, s37, 0
	s_mov_b64 s[4:5], s[38:39]
	s_mov_b64 s[10:11], s[34:35]
	s_mov_b32 s12, s45
	s_mov_b32 s13, s44
	;; [unrolled: 1-line block ×3, first 2 shown]
	v_mov_b32_e32 v31, v40
	s_getpc_b64 s[6:7]
	s_add_u32 s6, s6, _Z50ncclDevFunc_ReduceScatter_RING_LL_MinMax_u32_0_0_4v@rel32@lo+4
	s_addc_u32 s7, s7, _Z50ncclDevFunc_ReduceScatter_RING_LL_MinMax_u32_0_0_4v@rel32@hi+12
	s_swappc_b64 s[30:31], s[6:7]
.LBB2_326:                              ;   in Loop: Header=BB2_84 Depth=1
	s_mov_b64 s[4:5], 0
.LBB2_327:                              ;   in Loop: Header=BB2_84 Depth=1
	s_andn2_b64 vcc, exec, s[4:5]
	s_cbranch_vccnz .LBB2_343
; %bb.328:                              ;   in Loop: Header=BB2_84 Depth=1
	s_cmpk_gt_u32 s53, 0x43
	s_mov_b64 s[4:5], -1
	s_cbranch_scc0 .LBB2_338
; %bb.329:                              ;   in Loop: Header=BB2_84 Depth=1
	v_cmp_lt_i16_e32 vcc, s53, v72
	s_cbranch_vccnz .LBB2_335
; %bb.330:                              ;   in Loop: Header=BB2_84 Depth=1
	v_cmp_ne_u16_e32 vcc, s53, v72
	s_cbranch_vccz .LBB2_332
; %bb.331:                              ;   in Loop: Header=BB2_84 Depth=1
	s_add_u32 s8, s36, 0x1000
	s_addc_u32 s9, s37, 0
	s_mov_b64 s[4:5], s[38:39]
	s_mov_b64 s[10:11], s[34:35]
	s_mov_b32 s12, s45
	s_mov_b32 s13, s44
	;; [unrolled: 1-line block ×3, first 2 shown]
	v_mov_b32_e32 v31, v40
	s_getpc_b64 s[6:7]
	s_add_u32 s6, s6, _Z49ncclDevFunc_ReduceScatter_RING_LL_MinMax_u8_0_0_4v@rel32@lo+4
	s_addc_u32 s7, s7, _Z49ncclDevFunc_ReduceScatter_RING_LL_MinMax_u8_0_0_4v@rel32@hi+12
	s_swappc_b64 s[30:31], s[6:7]
	s_mov_b64 s[4:5], 0
.LBB2_332:                              ;   in Loop: Header=BB2_84 Depth=1
	s_andn2_b64 vcc, exec, s[4:5]
	s_cbranch_vccnz .LBB2_334
; %bb.333:                              ;   in Loop: Header=BB2_84 Depth=1
	s_add_u32 s8, s36, 0x1000
	s_addc_u32 s9, s37, 0
	s_mov_b64 s[4:5], s[38:39]
	s_mov_b64 s[10:11], s[34:35]
	s_mov_b32 s12, s45
	s_mov_b32 s13, s44
	;; [unrolled: 1-line block ×3, first 2 shown]
	v_mov_b32_e32 v31, v40
	s_getpc_b64 s[6:7]
	s_add_u32 s6, s6, _Z51ncclDevFunc_ReduceScatter_RING_LL_Prod_f8e5m2_0_0_4v@rel32@lo+4
	s_addc_u32 s7, s7, _Z51ncclDevFunc_ReduceScatter_RING_LL_Prod_f8e5m2_0_0_4v@rel32@hi+12
	s_swappc_b64 s[30:31], s[6:7]
.LBB2_334:                              ;   in Loop: Header=BB2_84 Depth=1
	s_mov_b64 s[4:5], 0
.LBB2_335:                              ;   in Loop: Header=BB2_84 Depth=1
	s_andn2_b64 vcc, exec, s[4:5]
	s_cbranch_vccnz .LBB2_337
; %bb.336:                              ;   in Loop: Header=BB2_84 Depth=1
	s_add_u32 s8, s36, 0x1000
	s_addc_u32 s9, s37, 0
	s_mov_b64 s[4:5], s[38:39]
	s_mov_b64 s[10:11], s[34:35]
	s_mov_b32 s12, s45
	s_mov_b32 s13, s44
	;; [unrolled: 1-line block ×3, first 2 shown]
	v_mov_b32_e32 v31, v40
	s_getpc_b64 s[6:7]
	s_add_u32 s6, s6, _Z51ncclDevFunc_ReduceScatter_RING_LL_Prod_f8e4m3_0_0_4v@rel32@lo+4
	s_addc_u32 s7, s7, _Z51ncclDevFunc_ReduceScatter_RING_LL_Prod_f8e4m3_0_0_4v@rel32@hi+12
	s_swappc_b64 s[30:31], s[6:7]
.LBB2_337:                              ;   in Loop: Header=BB2_84 Depth=1
	s_mov_b64 s[4:5], 0
.LBB2_338:                              ;   in Loop: Header=BB2_84 Depth=1
	s_and_b64 vcc, exec, s[4:5]
	s_cbranch_vccz .LBB2_343
; %bb.339:                              ;   in Loop: Header=BB2_84 Depth=1
	s_cmpk_eq_i32 s53, 0x43
	s_mov_b64 s[4:5], -1
	s_cbranch_scc1 .LBB2_341
; %bb.340:                              ;   in Loop: Header=BB2_84 Depth=1
	s_add_u32 s8, s36, 0x1000
	s_addc_u32 s9, s37, 0
	s_mov_b64 s[4:5], s[38:39]
	s_mov_b64 s[10:11], s[34:35]
	s_mov_b32 s12, s45
	s_mov_b32 s13, s44
	s_mov_b32 s14, s33
	v_mov_b32_e32 v31, v40
	s_getpc_b64 s[6:7]
	s_add_u32 s6, s6, _Z48ncclDevFunc_ReduceScatter_RING_LL_Prod_f64_0_0_4v@rel32@lo+4
	s_addc_u32 s7, s7, _Z48ncclDevFunc_ReduceScatter_RING_LL_Prod_f64_0_0_4v@rel32@hi+12
	s_swappc_b64 s[30:31], s[6:7]
	s_mov_b64 s[4:5], 0
.LBB2_341:                              ;   in Loop: Header=BB2_84 Depth=1
	s_andn2_b64 vcc, exec, s[4:5]
	s_cbranch_vccnz .LBB2_343
; %bb.342:                              ;   in Loop: Header=BB2_84 Depth=1
	s_add_u32 s8, s36, 0x1000
	s_addc_u32 s9, s37, 0
	s_mov_b64 s[4:5], s[38:39]
	s_mov_b64 s[10:11], s[34:35]
	s_mov_b32 s12, s45
	s_mov_b32 s13, s44
	;; [unrolled: 1-line block ×3, first 2 shown]
	v_mov_b32_e32 v31, v40
	s_getpc_b64 s[6:7]
	s_add_u32 s6, s6, _Z49ncclDevFunc_ReduceScatter_RING_LL_Prod_bf16_0_0_4v@rel32@lo+4
	s_addc_u32 s7, s7, _Z49ncclDevFunc_ReduceScatter_RING_LL_Prod_bf16_0_0_4v@rel32@hi+12
	s_swappc_b64 s[30:31], s[6:7]
.LBB2_343:                              ;   in Loop: Header=BB2_84 Depth=1
	s_mov_b64 s[4:5], 0
.LBB2_344:                              ;   in Loop: Header=BB2_84 Depth=1
	s_andn2_b64 vcc, exec, s[4:5]
	s_cbranch_vccnz .LBB2_414
; %bb.345:                              ;   in Loop: Header=BB2_84 Depth=1
	s_cmp_gt_u32 s53, 54
	s_mov_b64 s[4:5], -1
	s_cbranch_scc0 .LBB2_384
; %bb.346:                              ;   in Loop: Header=BB2_84 Depth=1
	s_cmp_gt_u32 s53, 59
	s_cbranch_scc0 .LBB2_367
; %bb.347:                              ;   in Loop: Header=BB2_84 Depth=1
	s_cmp_gt_u32 s53, 62
	s_cbranch_scc0 .LBB2_357
; %bb.348:                              ;   in Loop: Header=BB2_84 Depth=1
	v_cmp_lt_i16_e64 s[6:7], s53, 64
	s_and_b64 vcc, exec, s[6:7]
	s_cbranch_vccnz .LBB2_354
; %bb.349:                              ;   in Loop: Header=BB2_84 Depth=1
	v_cmp_ne_u16_e64 s[6:7], s53, 64
	s_and_b64 vcc, exec, s[6:7]
	s_cbranch_vccz .LBB2_351
; %bb.350:                              ;   in Loop: Header=BB2_84 Depth=1
	s_add_u32 s8, s36, 0x1000
	s_addc_u32 s9, s37, 0
	s_mov_b64 s[4:5], s[38:39]
	s_mov_b64 s[10:11], s[34:35]
	s_mov_b32 s12, s45
	s_mov_b32 s13, s44
	;; [unrolled: 1-line block ×3, first 2 shown]
	v_mov_b32_e32 v31, v40
	s_getpc_b64 s[6:7]
	s_add_u32 s6, s6, _Z48ncclDevFunc_ReduceScatter_RING_LL_Prod_f32_0_0_4v@rel32@lo+4
	s_addc_u32 s7, s7, _Z48ncclDevFunc_ReduceScatter_RING_LL_Prod_f32_0_0_4v@rel32@hi+12
	s_swappc_b64 s[30:31], s[6:7]
	s_mov_b64 s[4:5], 0
.LBB2_351:                              ;   in Loop: Header=BB2_84 Depth=1
	s_andn2_b64 vcc, exec, s[4:5]
	s_cbranch_vccnz .LBB2_353
; %bb.352:                              ;   in Loop: Header=BB2_84 Depth=1
	s_add_u32 s8, s36, 0x1000
	s_addc_u32 s9, s37, 0
	s_mov_b64 s[4:5], s[38:39]
	s_mov_b64 s[10:11], s[34:35]
	s_mov_b32 s12, s45
	s_mov_b32 s13, s44
	;; [unrolled: 1-line block ×3, first 2 shown]
	v_mov_b32_e32 v31, v40
	s_getpc_b64 s[6:7]
	s_add_u32 s6, s6, _Z48ncclDevFunc_ReduceScatter_RING_LL_Prod_f16_0_0_4v@rel32@lo+4
	s_addc_u32 s7, s7, _Z48ncclDevFunc_ReduceScatter_RING_LL_Prod_f16_0_0_4v@rel32@hi+12
	s_swappc_b64 s[30:31], s[6:7]
.LBB2_353:                              ;   in Loop: Header=BB2_84 Depth=1
	s_mov_b64 s[4:5], 0
.LBB2_354:                              ;   in Loop: Header=BB2_84 Depth=1
	s_andn2_b64 vcc, exec, s[4:5]
	s_cbranch_vccnz .LBB2_356
; %bb.355:                              ;   in Loop: Header=BB2_84 Depth=1
	s_add_u32 s8, s36, 0x1000
	s_addc_u32 s9, s37, 0
	s_mov_b64 s[4:5], s[38:39]
	s_mov_b64 s[10:11], s[34:35]
	s_mov_b32 s12, s45
	s_mov_b32 s13, s44
	;; [unrolled: 1-line block ×3, first 2 shown]
	v_mov_b32_e32 v31, v40
	s_getpc_b64 s[6:7]
	s_add_u32 s6, s6, _Z48ncclDevFunc_ReduceScatter_RING_LL_Prod_u64_0_0_4v@rel32@lo+4
	s_addc_u32 s7, s7, _Z48ncclDevFunc_ReduceScatter_RING_LL_Prod_u64_0_0_4v@rel32@hi+12
	s_swappc_b64 s[30:31], s[6:7]
.LBB2_356:                              ;   in Loop: Header=BB2_84 Depth=1
	s_mov_b64 s[4:5], 0
.LBB2_357:                              ;   in Loop: Header=BB2_84 Depth=1
	s_and_b64 vcc, exec, s[4:5]
	s_cbranch_vccz .LBB2_366
; %bb.358:                              ;   in Loop: Header=BB2_84 Depth=1
	v_cmp_lt_i16_e64 s[6:7], s53, 61
	s_mov_b64 s[4:5], -1
	s_and_b64 vcc, exec, s[6:7]
	s_cbranch_vccnz .LBB2_364
; %bb.359:                              ;   in Loop: Header=BB2_84 Depth=1
	v_cmp_ne_u16_e64 s[6:7], s53, 61
	s_and_b64 vcc, exec, s[6:7]
	s_cbranch_vccz .LBB2_361
; %bb.360:                              ;   in Loop: Header=BB2_84 Depth=1
	s_add_u32 s8, s36, 0x1000
	s_addc_u32 s9, s37, 0
	s_mov_b64 s[4:5], s[38:39]
	s_mov_b64 s[10:11], s[34:35]
	s_mov_b32 s12, s45
	s_mov_b32 s13, s44
	;; [unrolled: 1-line block ×3, first 2 shown]
	v_mov_b32_e32 v31, v40
	s_getpc_b64 s[6:7]
	s_add_u32 s6, s6, _Z48ncclDevFunc_ReduceScatter_RING_LL_Prod_u32_0_0_4v@rel32@lo+4
	s_addc_u32 s7, s7, _Z48ncclDevFunc_ReduceScatter_RING_LL_Prod_u32_0_0_4v@rel32@hi+12
	s_swappc_b64 s[30:31], s[6:7]
	s_mov_b64 s[4:5], 0
.LBB2_361:                              ;   in Loop: Header=BB2_84 Depth=1
	s_andn2_b64 vcc, exec, s[4:5]
	s_cbranch_vccnz .LBB2_363
; %bb.362:                              ;   in Loop: Header=BB2_84 Depth=1
	s_add_u32 s8, s36, 0x1000
	s_addc_u32 s9, s37, 0
	s_mov_b64 s[4:5], s[38:39]
	s_mov_b64 s[10:11], s[34:35]
	s_mov_b32 s12, s45
	s_mov_b32 s13, s44
	;; [unrolled: 1-line block ×3, first 2 shown]
	v_mov_b32_e32 v31, v40
	s_getpc_b64 s[6:7]
	s_add_u32 s6, s6, _Z47ncclDevFunc_ReduceScatter_RING_LL_Prod_u8_0_0_4v@rel32@lo+4
	s_addc_u32 s7, s7, _Z47ncclDevFunc_ReduceScatter_RING_LL_Prod_u8_0_0_4v@rel32@hi+12
	s_swappc_b64 s[30:31], s[6:7]
.LBB2_363:                              ;   in Loop: Header=BB2_84 Depth=1
	s_mov_b64 s[4:5], 0
.LBB2_364:                              ;   in Loop: Header=BB2_84 Depth=1
	s_andn2_b64 vcc, exec, s[4:5]
	s_cbranch_vccnz .LBB2_366
; %bb.365:                              ;   in Loop: Header=BB2_84 Depth=1
	s_add_u32 s8, s36, 0x1000
	s_addc_u32 s9, s37, 0
	s_mov_b64 s[4:5], s[38:39]
	s_mov_b64 s[10:11], s[34:35]
	s_mov_b32 s12, s45
	s_mov_b32 s13, s44
	;; [unrolled: 1-line block ×3, first 2 shown]
	v_mov_b32_e32 v31, v40
	s_getpc_b64 s[6:7]
	s_add_u32 s6, s6, _Z50ncclDevFunc_ReduceScatter_RING_LL_Sum_f8e5m2_0_0_4v@rel32@lo+4
	s_addc_u32 s7, s7, _Z50ncclDevFunc_ReduceScatter_RING_LL_Sum_f8e5m2_0_0_4v@rel32@hi+12
	s_swappc_b64 s[30:31], s[6:7]
.LBB2_366:                              ;   in Loop: Header=BB2_84 Depth=1
	s_mov_b64 s[4:5], 0
.LBB2_367:                              ;   in Loop: Header=BB2_84 Depth=1
	s_andn2_b64 vcc, exec, s[4:5]
	s_cbranch_vccnz .LBB2_383
; %bb.368:                              ;   in Loop: Header=BB2_84 Depth=1
	s_cmp_gt_u32 s53, 56
	s_mov_b64 s[4:5], -1
	s_cbranch_scc0 .LBB2_378
; %bb.369:                              ;   in Loop: Header=BB2_84 Depth=1
	v_cmp_lt_i16_e64 s[6:7], s53, 58
	s_and_b64 vcc, exec, s[6:7]
	s_cbranch_vccnz .LBB2_375
; %bb.370:                              ;   in Loop: Header=BB2_84 Depth=1
	v_cmp_ne_u16_e64 s[6:7], s53, 58
	s_and_b64 vcc, exec, s[6:7]
	s_cbranch_vccz .LBB2_372
; %bb.371:                              ;   in Loop: Header=BB2_84 Depth=1
	s_add_u32 s8, s36, 0x1000
	s_addc_u32 s9, s37, 0
	s_mov_b64 s[4:5], s[38:39]
	s_mov_b64 s[10:11], s[34:35]
	s_mov_b32 s12, s45
	s_mov_b32 s13, s44
	;; [unrolled: 1-line block ×3, first 2 shown]
	v_mov_b32_e32 v31, v40
	s_getpc_b64 s[6:7]
	s_add_u32 s6, s6, _Z50ncclDevFunc_ReduceScatter_RING_LL_Sum_f8e4m3_0_0_4v@rel32@lo+4
	s_addc_u32 s7, s7, _Z50ncclDevFunc_ReduceScatter_RING_LL_Sum_f8e4m3_0_0_4v@rel32@hi+12
	s_swappc_b64 s[30:31], s[6:7]
	s_mov_b64 s[4:5], 0
.LBB2_372:                              ;   in Loop: Header=BB2_84 Depth=1
	s_andn2_b64 vcc, exec, s[4:5]
	s_cbranch_vccnz .LBB2_374
; %bb.373:                              ;   in Loop: Header=BB2_84 Depth=1
	s_add_u32 s8, s36, 0x1000
	s_addc_u32 s9, s37, 0
	s_mov_b64 s[4:5], s[38:39]
	s_mov_b64 s[10:11], s[34:35]
	s_mov_b32 s12, s45
	s_mov_b32 s13, s44
	;; [unrolled: 1-line block ×3, first 2 shown]
	v_mov_b32_e32 v31, v40
	s_getpc_b64 s[6:7]
	s_add_u32 s6, s6, _Z48ncclDevFunc_ReduceScatter_RING_LL_Sum_bf16_0_0_4v@rel32@lo+4
	s_addc_u32 s7, s7, _Z48ncclDevFunc_ReduceScatter_RING_LL_Sum_bf16_0_0_4v@rel32@hi+12
	s_swappc_b64 s[30:31], s[6:7]
.LBB2_374:                              ;   in Loop: Header=BB2_84 Depth=1
	s_mov_b64 s[4:5], 0
.LBB2_375:                              ;   in Loop: Header=BB2_84 Depth=1
	s_andn2_b64 vcc, exec, s[4:5]
	s_cbranch_vccnz .LBB2_377
; %bb.376:                              ;   in Loop: Header=BB2_84 Depth=1
	s_add_u32 s8, s36, 0x1000
	s_addc_u32 s9, s37, 0
	s_mov_b64 s[4:5], s[38:39]
	s_mov_b64 s[10:11], s[34:35]
	s_mov_b32 s12, s45
	s_mov_b32 s13, s44
	;; [unrolled: 1-line block ×3, first 2 shown]
	v_mov_b32_e32 v31, v40
	s_getpc_b64 s[6:7]
	s_add_u32 s6, s6, _Z47ncclDevFunc_ReduceScatter_RING_LL_Sum_f64_0_0_4v@rel32@lo+4
	s_addc_u32 s7, s7, _Z47ncclDevFunc_ReduceScatter_RING_LL_Sum_f64_0_0_4v@rel32@hi+12
	s_swappc_b64 s[30:31], s[6:7]
.LBB2_377:                              ;   in Loop: Header=BB2_84 Depth=1
	s_mov_b64 s[4:5], 0
.LBB2_378:                              ;   in Loop: Header=BB2_84 Depth=1
	s_and_b64 vcc, exec, s[4:5]
	s_cbranch_vccz .LBB2_383
; %bb.379:                              ;   in Loop: Header=BB2_84 Depth=1
	s_cmp_eq_u32 s53, 56
	s_mov_b64 s[4:5], -1
	s_cbranch_scc1 .LBB2_381
; %bb.380:                              ;   in Loop: Header=BB2_84 Depth=1
	s_add_u32 s8, s36, 0x1000
	s_addc_u32 s9, s37, 0
	s_mov_b64 s[4:5], s[38:39]
	s_mov_b64 s[10:11], s[34:35]
	s_mov_b32 s12, s45
	s_mov_b32 s13, s44
	;; [unrolled: 1-line block ×3, first 2 shown]
	v_mov_b32_e32 v31, v40
	s_getpc_b64 s[6:7]
	s_add_u32 s6, s6, _Z47ncclDevFunc_ReduceScatter_RING_LL_Sum_f16_0_0_4v@rel32@lo+4
	s_addc_u32 s7, s7, _Z47ncclDevFunc_ReduceScatter_RING_LL_Sum_f16_0_0_4v@rel32@hi+12
	s_swappc_b64 s[30:31], s[6:7]
	s_mov_b64 s[4:5], 0
.LBB2_381:                              ;   in Loop: Header=BB2_84 Depth=1
	s_andn2_b64 vcc, exec, s[4:5]
	s_cbranch_vccnz .LBB2_383
; %bb.382:                              ;   in Loop: Header=BB2_84 Depth=1
	s_add_u32 s8, s36, 0x1000
	s_addc_u32 s9, s37, 0
	s_mov_b64 s[4:5], s[38:39]
	s_mov_b64 s[10:11], s[34:35]
	s_mov_b32 s12, s45
	s_mov_b32 s13, s44
	;; [unrolled: 1-line block ×3, first 2 shown]
	v_mov_b32_e32 v31, v40
	s_getpc_b64 s[6:7]
	s_add_u32 s6, s6, _Z47ncclDevFunc_ReduceScatter_RING_LL_Sum_f32_0_0_4v@rel32@lo+4
	s_addc_u32 s7, s7, _Z47ncclDevFunc_ReduceScatter_RING_LL_Sum_f32_0_0_4v@rel32@hi+12
	s_swappc_b64 s[30:31], s[6:7]
.LBB2_383:                              ;   in Loop: Header=BB2_84 Depth=1
	s_mov_b64 s[4:5], 0
.LBB2_384:                              ;   in Loop: Header=BB2_84 Depth=1
	s_andn2_b64 vcc, exec, s[4:5]
	s_cbranch_vccnz .LBB2_414
; %bb.385:                              ;   in Loop: Header=BB2_84 Depth=1
	s_cmp_gt_u32 s53, 48
	s_mov_b64 s[4:5], -1
	s_cbranch_scc0 .LBB2_402
; %bb.386:                              ;   in Loop: Header=BB2_84 Depth=1
	s_cmp_gt_u32 s53, 51
	s_cbranch_scc0 .LBB2_396
; %bb.387:                              ;   in Loop: Header=BB2_84 Depth=1
	v_cmp_lt_i16_e64 s[6:7], s53, 53
	s_and_b64 vcc, exec, s[6:7]
	s_cbranch_vccnz .LBB2_393
; %bb.388:                              ;   in Loop: Header=BB2_84 Depth=1
	v_cmp_ne_u16_e64 s[6:7], s53, 53
	s_and_b64 vcc, exec, s[6:7]
	s_cbranch_vccz .LBB2_390
; %bb.389:                              ;   in Loop: Header=BB2_84 Depth=1
	s_add_u32 s8, s36, 0x1000
	s_addc_u32 s9, s37, 0
	s_mov_b64 s[4:5], s[38:39]
	s_mov_b64 s[10:11], s[34:35]
	s_mov_b32 s12, s45
	s_mov_b32 s13, s44
	;; [unrolled: 1-line block ×3, first 2 shown]
	v_mov_b32_e32 v31, v40
	s_getpc_b64 s[6:7]
	s_add_u32 s6, s6, _Z47ncclDevFunc_ReduceScatter_RING_LL_Sum_u64_0_0_4v@rel32@lo+4
	s_addc_u32 s7, s7, _Z47ncclDevFunc_ReduceScatter_RING_LL_Sum_u64_0_0_4v@rel32@hi+12
	s_swappc_b64 s[30:31], s[6:7]
	s_mov_b64 s[4:5], 0
.LBB2_390:                              ;   in Loop: Header=BB2_84 Depth=1
	s_andn2_b64 vcc, exec, s[4:5]
	s_cbranch_vccnz .LBB2_392
; %bb.391:                              ;   in Loop: Header=BB2_84 Depth=1
	s_add_u32 s8, s36, 0x1000
	s_addc_u32 s9, s37, 0
	s_mov_b64 s[4:5], s[38:39]
	s_mov_b64 s[10:11], s[34:35]
	s_mov_b32 s12, s45
	s_mov_b32 s13, s44
	;; [unrolled: 1-line block ×3, first 2 shown]
	v_mov_b32_e32 v31, v40
	s_getpc_b64 s[6:7]
	s_add_u32 s6, s6, _Z47ncclDevFunc_ReduceScatter_RING_LL_Sum_u32_0_0_4v@rel32@lo+4
	s_addc_u32 s7, s7, _Z47ncclDevFunc_ReduceScatter_RING_LL_Sum_u32_0_0_4v@rel32@hi+12
	s_swappc_b64 s[30:31], s[6:7]
.LBB2_392:                              ;   in Loop: Header=BB2_84 Depth=1
	s_mov_b64 s[4:5], 0
.LBB2_393:                              ;   in Loop: Header=BB2_84 Depth=1
	s_andn2_b64 vcc, exec, s[4:5]
	s_cbranch_vccnz .LBB2_395
; %bb.394:                              ;   in Loop: Header=BB2_84 Depth=1
	s_add_u32 s8, s36, 0x1000
	s_addc_u32 s9, s37, 0
	s_mov_b64 s[4:5], s[38:39]
	s_mov_b64 s[10:11], s[34:35]
	s_mov_b32 s12, s45
	s_mov_b32 s13, s44
	;; [unrolled: 1-line block ×3, first 2 shown]
	v_mov_b32_e32 v31, v40
	s_getpc_b64 s[6:7]
	s_add_u32 s6, s6, _Z46ncclDevFunc_ReduceScatter_RING_LL_Sum_u8_0_0_4v@rel32@lo+4
	s_addc_u32 s7, s7, _Z46ncclDevFunc_ReduceScatter_RING_LL_Sum_u8_0_0_4v@rel32@hi+12
	s_swappc_b64 s[30:31], s[6:7]
.LBB2_395:                              ;   in Loop: Header=BB2_84 Depth=1
	s_mov_b64 s[4:5], 0
.LBB2_396:                              ;   in Loop: Header=BB2_84 Depth=1
	s_and_b64 vcc, exec, s[4:5]
	s_cbranch_vccz .LBB2_401
; %bb.397:                              ;   in Loop: Header=BB2_84 Depth=1
	s_cmp_lg_u32 s53, 49
	s_mov_b64 s[4:5], -1
	s_cbranch_scc0 .LBB2_399
; %bb.398:                              ;   in Loop: Header=BB2_84 Depth=1
	s_add_u32 s8, s36, 0x1000
	s_addc_u32 s9, s37, 0
	s_mov_b64 s[4:5], s[38:39]
	s_mov_b64 s[10:11], s[34:35]
	s_mov_b32 s12, s45
	s_mov_b32 s13, s44
	;; [unrolled: 1-line block ×3, first 2 shown]
	v_mov_b32_e32 v31, v40
	s_getpc_b64 s[6:7]
	s_add_u32 s6, s6, _Z45ncclDevFunc_AllGather_PAT_SIMPLE_Sum_i8_0_0_4v@rel32@lo+4
	s_addc_u32 s7, s7, _Z45ncclDevFunc_AllGather_PAT_SIMPLE_Sum_i8_0_0_4v@rel32@hi+12
	s_swappc_b64 s[30:31], s[6:7]
	s_mov_b64 s[4:5], 0
.LBB2_399:                              ;   in Loop: Header=BB2_84 Depth=1
	s_andn2_b64 vcc, exec, s[4:5]
	s_cbranch_vccnz .LBB2_401
; %bb.400:                              ;   in Loop: Header=BB2_84 Depth=1
	s_add_u32 s8, s36, 0x1000
	s_addc_u32 s9, s37, 0
	s_mov_b64 s[4:5], s[38:39]
	s_mov_b64 s[10:11], s[34:35]
	s_mov_b32 s12, s45
	s_mov_b32 s13, s44
	;; [unrolled: 1-line block ×3, first 2 shown]
	v_mov_b32_e32 v31, v40
	s_getpc_b64 s[6:7]
	s_add_u32 s6, s6, _Z41ncclDevFunc_AllGather_PAT_LL_Sum_i8_0_0_4v@rel32@lo+4
	s_addc_u32 s7, s7, _Z41ncclDevFunc_AllGather_PAT_LL_Sum_i8_0_0_4v@rel32@hi+12
	s_swappc_b64 s[30:31], s[6:7]
.LBB2_401:                              ;   in Loop: Header=BB2_84 Depth=1
	s_mov_b64 s[4:5], 0
.LBB2_402:                              ;   in Loop: Header=BB2_84 Depth=1
	s_andn2_b64 vcc, exec, s[4:5]
	s_cbranch_vccnz .LBB2_414
; %bb.403:                              ;   in Loop: Header=BB2_84 Depth=1
	s_cmp_gt_u32 s53, 45
	s_mov_b64 s[4:5], -1
	s_cbranch_scc0 .LBB2_409
; %bb.404:                              ;   in Loop: Header=BB2_84 Depth=1
	s_cmp_lg_u32 s53, 46
	s_cbranch_scc0 .LBB2_406
; %bb.405:                              ;   in Loop: Header=BB2_84 Depth=1
	s_add_u32 s8, s36, 0x1000
	s_addc_u32 s9, s37, 0
	s_mov_b64 s[4:5], s[38:39]
	s_mov_b64 s[10:11], s[34:35]
	s_mov_b32 s12, s45
	s_mov_b32 s13, s44
	;; [unrolled: 1-line block ×3, first 2 shown]
	v_mov_b32_e32 v31, v40
	s_getpc_b64 s[6:7]
	s_add_u32 s6, s6, _Z46ncclDevFunc_AllGather_RING_SIMPLE_Sum_i8_0_0_4v@rel32@lo+4
	s_addc_u32 s7, s7, _Z46ncclDevFunc_AllGather_RING_SIMPLE_Sum_i8_0_0_4v@rel32@hi+12
	s_swappc_b64 s[30:31], s[6:7]
	s_mov_b64 s[4:5], 0
.LBB2_406:                              ;   in Loop: Header=BB2_84 Depth=1
	s_andn2_b64 vcc, exec, s[4:5]
	s_cbranch_vccnz .LBB2_408
; %bb.407:                              ;   in Loop: Header=BB2_84 Depth=1
	s_add_u32 s8, s36, 0x1000
	s_addc_u32 s9, s37, 0
	s_mov_b64 s[4:5], s[38:39]
	s_mov_b64 s[10:11], s[34:35]
	s_mov_b32 s12, s45
	s_mov_b32 s13, s44
	;; [unrolled: 1-line block ×3, first 2 shown]
	v_mov_b32_e32 v31, v40
	s_getpc_b64 s[6:7]
	s_add_u32 s6, s6, _Z42ncclDevFunc_AllGather_RING_LL_Sum_i8_0_0_4v@rel32@lo+4
	s_addc_u32 s7, s7, _Z42ncclDevFunc_AllGather_RING_LL_Sum_i8_0_0_4v@rel32@hi+12
	s_swappc_b64 s[30:31], s[6:7]
.LBB2_408:                              ;   in Loop: Header=BB2_84 Depth=1
	s_mov_b64 s[4:5], 0
.LBB2_409:                              ;   in Loop: Header=BB2_84 Depth=1
	s_andn2_b64 vcc, exec, s[4:5]
	s_cbranch_vccnz .LBB2_414
; %bb.410:                              ;   in Loop: Header=BB2_84 Depth=1
	s_cmp_eq_u32 s53, 45
	s_mov_b64 s[4:5], -1
	s_cbranch_scc1 .LBB2_412
; %bb.411:                              ;   in Loop: Header=BB2_84 Depth=1
	s_add_u32 s8, s36, 0x1000
	s_addc_u32 s9, s37, 0
	s_mov_b64 s[4:5], s[38:39]
	s_mov_b64 s[10:11], s[34:35]
	s_mov_b32 s12, s45
	s_mov_b32 s13, s44
	;; [unrolled: 1-line block ×3, first 2 shown]
	v_mov_b32_e32 v31, v40
	s_getpc_b64 s[6:7]
	s_add_u32 s6, s6, _Z51ncclDevFunc_Reduce_RING_SIMPLE_SumPostDiv_u32_0_0_4v@rel32@lo+4
	s_addc_u32 s7, s7, _Z51ncclDevFunc_Reduce_RING_SIMPLE_SumPostDiv_u32_0_0_4v@rel32@hi+12
	s_swappc_b64 s[30:31], s[6:7]
	s_mov_b64 s[4:5], 0
.LBB2_412:                              ;   in Loop: Header=BB2_84 Depth=1
	s_andn2_b64 vcc, exec, s[4:5]
	s_cbranch_vccnz .LBB2_414
; %bb.413:                              ;   in Loop: Header=BB2_84 Depth=1
	s_add_u32 s8, s36, 0x1000
	s_addc_u32 s9, s37, 0
	s_mov_b64 s[4:5], s[38:39]
	s_mov_b64 s[10:11], s[34:35]
	s_mov_b32 s12, s45
	s_mov_b32 s13, s44
	;; [unrolled: 1-line block ×3, first 2 shown]
	v_mov_b32_e32 v31, v40
	s_getpc_b64 s[6:7]
	s_add_u32 s6, s6, _Z51ncclDevFunc_Reduce_RING_SIMPLE_SumPostDiv_u64_0_0_4v@rel32@lo+4
	s_addc_u32 s7, s7, _Z51ncclDevFunc_Reduce_RING_SIMPLE_SumPostDiv_u64_0_0_4v@rel32@hi+12
	s_swappc_b64 s[30:31], s[6:7]
.LBB2_414:                              ;   in Loop: Header=BB2_84 Depth=1
	s_mov_b64 s[4:5], 0
.LBB2_415:                              ;   in Loop: Header=BB2_84 Depth=1
	s_andn2_b64 vcc, exec, s[4:5]
	s_cbranch_vccnz .LBB2_570
; %bb.416:                              ;   in Loop: Header=BB2_84 Depth=1
	s_cmp_gt_u32 s53, 21
	s_mov_b64 s[4:5], -1
	s_cbranch_scc0 .LBB2_495
; %bb.417:                              ;   in Loop: Header=BB2_84 Depth=1
	s_cmp_gt_u32 s53, 32
	s_cbranch_scc0 .LBB2_456
; %bb.418:                              ;   in Loop: Header=BB2_84 Depth=1
	s_cmp_gt_u32 s53, 37
	;; [unrolled: 3-line block ×3, first 2 shown]
	s_cbranch_scc0 .LBB2_429
; %bb.420:                              ;   in Loop: Header=BB2_84 Depth=1
	v_cmp_lt_i16_e64 s[6:7], s53, 42
	s_and_b64 vcc, exec, s[6:7]
	s_cbranch_vccnz .LBB2_426
; %bb.421:                              ;   in Loop: Header=BB2_84 Depth=1
	v_cmp_ne_u16_e64 s[6:7], s53, 42
	s_and_b64 vcc, exec, s[6:7]
	s_cbranch_vccz .LBB2_423
; %bb.422:                              ;   in Loop: Header=BB2_84 Depth=1
	s_add_u32 s8, s36, 0x1000
	s_addc_u32 s9, s37, 0
	s_mov_b64 s[4:5], s[38:39]
	s_mov_b64 s[10:11], s[34:35]
	s_mov_b32 s12, s45
	s_mov_b32 s13, s44
	;; [unrolled: 1-line block ×3, first 2 shown]
	v_mov_b32_e32 v31, v40
	s_getpc_b64 s[6:7]
	s_add_u32 s6, s6, _Z50ncclDevFunc_Reduce_RING_SIMPLE_SumPostDiv_u8_0_0_4v@rel32@lo+4
	s_addc_u32 s7, s7, _Z50ncclDevFunc_Reduce_RING_SIMPLE_SumPostDiv_u8_0_0_4v@rel32@hi+12
	s_swappc_b64 s[30:31], s[6:7]
	s_mov_b64 s[4:5], 0
.LBB2_423:                              ;   in Loop: Header=BB2_84 Depth=1
	s_andn2_b64 vcc, exec, s[4:5]
	s_cbranch_vccnz .LBB2_425
; %bb.424:                              ;   in Loop: Header=BB2_84 Depth=1
	s_add_u32 s8, s36, 0x1000
	s_addc_u32 s9, s37, 0
	s_mov_b64 s[4:5], s[38:39]
	s_mov_b64 s[10:11], s[34:35]
	s_mov_b32 s12, s45
	s_mov_b32 s13, s44
	;; [unrolled: 1-line block ×3, first 2 shown]
	v_mov_b32_e32 v31, v40
	s_getpc_b64 s[6:7]
	s_add_u32 s6, s6, _Z53ncclDevFunc_Reduce_RING_SIMPLE_PreMulSum_f8e5m2_0_0_4v@rel32@lo+4
	s_addc_u32 s7, s7, _Z53ncclDevFunc_Reduce_RING_SIMPLE_PreMulSum_f8e5m2_0_0_4v@rel32@hi+12
	s_swappc_b64 s[30:31], s[6:7]
.LBB2_425:                              ;   in Loop: Header=BB2_84 Depth=1
	s_mov_b64 s[4:5], 0
.LBB2_426:                              ;   in Loop: Header=BB2_84 Depth=1
	s_andn2_b64 vcc, exec, s[4:5]
	s_cbranch_vccnz .LBB2_428
; %bb.427:                              ;   in Loop: Header=BB2_84 Depth=1
	s_add_u32 s8, s36, 0x1000
	s_addc_u32 s9, s37, 0
	s_mov_b64 s[4:5], s[38:39]
	s_mov_b64 s[10:11], s[34:35]
	s_mov_b32 s12, s45
	s_mov_b32 s13, s44
	;; [unrolled: 1-line block ×3, first 2 shown]
	v_mov_b32_e32 v31, v40
	s_getpc_b64 s[6:7]
	s_add_u32 s6, s6, _Z53ncclDevFunc_Reduce_RING_SIMPLE_PreMulSum_f8e4m3_0_0_4v@rel32@lo+4
	s_addc_u32 s7, s7, _Z53ncclDevFunc_Reduce_RING_SIMPLE_PreMulSum_f8e4m3_0_0_4v@rel32@hi+12
	s_swappc_b64 s[30:31], s[6:7]
.LBB2_428:                              ;   in Loop: Header=BB2_84 Depth=1
	s_mov_b64 s[4:5], 0
.LBB2_429:                              ;   in Loop: Header=BB2_84 Depth=1
	s_and_b64 vcc, exec, s[4:5]
	s_cbranch_vccz .LBB2_438
; %bb.430:                              ;   in Loop: Header=BB2_84 Depth=1
	v_cmp_lt_i16_e64 s[6:7], s53, 39
	s_mov_b64 s[4:5], -1
	s_and_b64 vcc, exec, s[6:7]
	s_cbranch_vccnz .LBB2_436
; %bb.431:                              ;   in Loop: Header=BB2_84 Depth=1
	v_cmp_ne_u16_e64 s[6:7], s53, 39
	s_and_b64 vcc, exec, s[6:7]
	s_cbranch_vccz .LBB2_433
; %bb.432:                              ;   in Loop: Header=BB2_84 Depth=1
	s_add_u32 s8, s36, 0x1000
	s_addc_u32 s9, s37, 0
	s_mov_b64 s[4:5], s[38:39]
	s_mov_b64 s[10:11], s[34:35]
	s_mov_b32 s12, s45
	s_mov_b32 s13, s44
	;; [unrolled: 1-line block ×3, first 2 shown]
	v_mov_b32_e32 v31, v40
	s_getpc_b64 s[6:7]
	s_add_u32 s6, s6, _Z51ncclDevFunc_Reduce_RING_SIMPLE_PreMulSum_bf16_0_1_4v@rel32@lo+4
	s_addc_u32 s7, s7, _Z51ncclDevFunc_Reduce_RING_SIMPLE_PreMulSum_bf16_0_1_4v@rel32@hi+12
	s_swappc_b64 s[30:31], s[6:7]
	s_mov_b64 s[4:5], 0
.LBB2_433:                              ;   in Loop: Header=BB2_84 Depth=1
	s_andn2_b64 vcc, exec, s[4:5]
	s_cbranch_vccnz .LBB2_435
; %bb.434:                              ;   in Loop: Header=BB2_84 Depth=1
	s_add_u32 s8, s36, 0x1000
	s_addc_u32 s9, s37, 0
	s_mov_b64 s[4:5], s[38:39]
	s_mov_b64 s[10:11], s[34:35]
	s_mov_b32 s12, s45
	s_mov_b32 s13, s44
	;; [unrolled: 1-line block ×3, first 2 shown]
	v_mov_b32_e32 v31, v40
	s_getpc_b64 s[6:7]
	s_add_u32 s6, s6, _Z51ncclDevFunc_Reduce_RING_SIMPLE_PreMulSum_bf16_0_0_4v@rel32@lo+4
	s_addc_u32 s7, s7, _Z51ncclDevFunc_Reduce_RING_SIMPLE_PreMulSum_bf16_0_0_4v@rel32@hi+12
	s_swappc_b64 s[30:31], s[6:7]
.LBB2_435:                              ;   in Loop: Header=BB2_84 Depth=1
	s_mov_b64 s[4:5], 0
.LBB2_436:                              ;   in Loop: Header=BB2_84 Depth=1
	s_andn2_b64 vcc, exec, s[4:5]
	s_cbranch_vccnz .LBB2_438
; %bb.437:                              ;   in Loop: Header=BB2_84 Depth=1
	s_add_u32 s8, s36, 0x1000
	s_addc_u32 s9, s37, 0
	s_mov_b64 s[4:5], s[38:39]
	s_mov_b64 s[10:11], s[34:35]
	s_mov_b32 s12, s45
	s_mov_b32 s13, s44
	;; [unrolled: 1-line block ×3, first 2 shown]
	v_mov_b32_e32 v31, v40
	s_getpc_b64 s[6:7]
	s_add_u32 s6, s6, _Z50ncclDevFunc_Reduce_RING_SIMPLE_PreMulSum_f64_0_0_4v@rel32@lo+4
	s_addc_u32 s7, s7, _Z50ncclDevFunc_Reduce_RING_SIMPLE_PreMulSum_f64_0_0_4v@rel32@hi+12
	s_swappc_b64 s[30:31], s[6:7]
.LBB2_438:                              ;   in Loop: Header=BB2_84 Depth=1
	s_mov_b64 s[4:5], 0
.LBB2_439:                              ;   in Loop: Header=BB2_84 Depth=1
	s_andn2_b64 vcc, exec, s[4:5]
	s_cbranch_vccnz .LBB2_455
; %bb.440:                              ;   in Loop: Header=BB2_84 Depth=1
	s_cmp_gt_u32 s53, 34
	s_mov_b64 s[4:5], -1
	s_cbranch_scc0 .LBB2_450
; %bb.441:                              ;   in Loop: Header=BB2_84 Depth=1
	v_cmp_lt_i16_e64 s[6:7], s53, 36
	s_and_b64 vcc, exec, s[6:7]
	s_cbranch_vccnz .LBB2_447
; %bb.442:                              ;   in Loop: Header=BB2_84 Depth=1
	v_cmp_ne_u16_e64 s[6:7], s53, 36
	s_and_b64 vcc, exec, s[6:7]
	s_cbranch_vccz .LBB2_444
; %bb.443:                              ;   in Loop: Header=BB2_84 Depth=1
	s_add_u32 s8, s36, 0x1000
	s_addc_u32 s9, s37, 0
	s_mov_b64 s[4:5], s[38:39]
	s_mov_b64 s[10:11], s[34:35]
	s_mov_b32 s12, s45
	s_mov_b32 s13, s44
	;; [unrolled: 1-line block ×3, first 2 shown]
	v_mov_b32_e32 v31, v40
	s_getpc_b64 s[6:7]
	s_add_u32 s6, s6, _Z50ncclDevFunc_Reduce_RING_SIMPLE_PreMulSum_f32_0_0_4v@rel32@lo+4
	s_addc_u32 s7, s7, _Z50ncclDevFunc_Reduce_RING_SIMPLE_PreMulSum_f32_0_0_4v@rel32@hi+12
	s_swappc_b64 s[30:31], s[6:7]
	s_mov_b64 s[4:5], 0
.LBB2_444:                              ;   in Loop: Header=BB2_84 Depth=1
	s_andn2_b64 vcc, exec, s[4:5]
	s_cbranch_vccnz .LBB2_446
; %bb.445:                              ;   in Loop: Header=BB2_84 Depth=1
	s_add_u32 s8, s36, 0x1000
	s_addc_u32 s9, s37, 0
	s_mov_b64 s[4:5], s[38:39]
	s_mov_b64 s[10:11], s[34:35]
	s_mov_b32 s12, s45
	s_mov_b32 s13, s44
	;; [unrolled: 1-line block ×3, first 2 shown]
	v_mov_b32_e32 v31, v40
	s_getpc_b64 s[6:7]
	s_add_u32 s6, s6, _Z50ncclDevFunc_Reduce_RING_SIMPLE_PreMulSum_f16_0_0_4v@rel32@lo+4
	s_addc_u32 s7, s7, _Z50ncclDevFunc_Reduce_RING_SIMPLE_PreMulSum_f16_0_0_4v@rel32@hi+12
	s_swappc_b64 s[30:31], s[6:7]
.LBB2_446:                              ;   in Loop: Header=BB2_84 Depth=1
	s_mov_b64 s[4:5], 0
.LBB2_447:                              ;   in Loop: Header=BB2_84 Depth=1
	s_andn2_b64 vcc, exec, s[4:5]
	s_cbranch_vccnz .LBB2_449
; %bb.448:                              ;   in Loop: Header=BB2_84 Depth=1
	s_add_u32 s8, s36, 0x1000
	s_addc_u32 s9, s37, 0
	s_mov_b64 s[4:5], s[38:39]
	s_mov_b64 s[10:11], s[34:35]
	s_mov_b32 s12, s45
	s_mov_b32 s13, s44
	;; [unrolled: 1-line block ×3, first 2 shown]
	v_mov_b32_e32 v31, v40
	s_getpc_b64 s[6:7]
	s_add_u32 s6, s6, _Z50ncclDevFunc_Reduce_RING_SIMPLE_PreMulSum_u64_0_0_4v@rel32@lo+4
	s_addc_u32 s7, s7, _Z50ncclDevFunc_Reduce_RING_SIMPLE_PreMulSum_u64_0_0_4v@rel32@hi+12
	s_swappc_b64 s[30:31], s[6:7]
.LBB2_449:                              ;   in Loop: Header=BB2_84 Depth=1
	s_mov_b64 s[4:5], 0
.LBB2_450:                              ;   in Loop: Header=BB2_84 Depth=1
	s_and_b64 vcc, exec, s[4:5]
	s_cbranch_vccz .LBB2_455
; %bb.451:                              ;   in Loop: Header=BB2_84 Depth=1
	s_cmp_eq_u32 s53, 34
	s_mov_b64 s[4:5], -1
	s_cbranch_scc1 .LBB2_453
; %bb.452:                              ;   in Loop: Header=BB2_84 Depth=1
	s_add_u32 s8, s36, 0x1000
	s_addc_u32 s9, s37, 0
	s_mov_b64 s[4:5], s[38:39]
	s_mov_b64 s[10:11], s[34:35]
	s_mov_b32 s12, s45
	s_mov_b32 s13, s44
	;; [unrolled: 1-line block ×3, first 2 shown]
	v_mov_b32_e32 v31, v40
	s_getpc_b64 s[6:7]
	s_add_u32 s6, s6, _Z49ncclDevFunc_Reduce_RING_SIMPLE_PreMulSum_u8_0_0_4v@rel32@lo+4
	s_addc_u32 s7, s7, _Z49ncclDevFunc_Reduce_RING_SIMPLE_PreMulSum_u8_0_0_4v@rel32@hi+12
	s_swappc_b64 s[30:31], s[6:7]
	s_mov_b64 s[4:5], 0
.LBB2_453:                              ;   in Loop: Header=BB2_84 Depth=1
	s_andn2_b64 vcc, exec, s[4:5]
	s_cbranch_vccnz .LBB2_455
; %bb.454:                              ;   in Loop: Header=BB2_84 Depth=1
	s_add_u32 s8, s36, 0x1000
	s_addc_u32 s9, s37, 0
	s_mov_b64 s[4:5], s[38:39]
	s_mov_b64 s[10:11], s[34:35]
	s_mov_b32 s12, s45
	s_mov_b32 s13, s44
	s_mov_b32 s14, s33
	v_mov_b32_e32 v31, v40
	s_getpc_b64 s[6:7]
	s_add_u32 s6, s6, _Z50ncclDevFunc_Reduce_RING_SIMPLE_PreMulSum_u32_0_0_4v@rel32@lo+4
	s_addc_u32 s7, s7, _Z50ncclDevFunc_Reduce_RING_SIMPLE_PreMulSum_u32_0_0_4v@rel32@hi+12
	s_swappc_b64 s[30:31], s[6:7]
.LBB2_455:                              ;   in Loop: Header=BB2_84 Depth=1
	s_mov_b64 s[4:5], 0
.LBB2_456:                              ;   in Loop: Header=BB2_84 Depth=1
	s_andn2_b64 vcc, exec, s[4:5]
	s_cbranch_vccnz .LBB2_494
; %bb.457:                              ;   in Loop: Header=BB2_84 Depth=1
	s_cmp_gt_u32 s53, 26
	s_mov_b64 s[4:5], -1
	s_cbranch_scc0 .LBB2_478
; %bb.458:                              ;   in Loop: Header=BB2_84 Depth=1
	s_cmp_gt_u32 s53, 29
	s_cbranch_scc0 .LBB2_468
; %bb.459:                              ;   in Loop: Header=BB2_84 Depth=1
	v_cmp_lt_i16_e64 s[6:7], s53, 31
	s_and_b64 vcc, exec, s[6:7]
	s_cbranch_vccnz .LBB2_465
; %bb.460:                              ;   in Loop: Header=BB2_84 Depth=1
	v_cmp_ne_u16_e64 s[6:7], s53, 31
	s_and_b64 vcc, exec, s[6:7]
	s_cbranch_vccz .LBB2_462
; %bb.461:                              ;   in Loop: Header=BB2_84 Depth=1
	s_add_u32 s8, s36, 0x1000
	s_addc_u32 s9, s37, 0
	s_mov_b64 s[4:5], s[38:39]
	s_mov_b64 s[10:11], s[34:35]
	s_mov_b32 s12, s45
	s_mov_b32 s13, s44
	;; [unrolled: 1-line block ×3, first 2 shown]
	v_mov_b32_e32 v31, v40
	s_getpc_b64 s[6:7]
	s_add_u32 s6, s6, _Z50ncclDevFunc_Reduce_RING_SIMPLE_MinMax_f8e5m2_0_0_4v@rel32@lo+4
	s_addc_u32 s7, s7, _Z50ncclDevFunc_Reduce_RING_SIMPLE_MinMax_f8e5m2_0_0_4v@rel32@hi+12
	s_swappc_b64 s[30:31], s[6:7]
	s_mov_b64 s[4:5], 0
.LBB2_462:                              ;   in Loop: Header=BB2_84 Depth=1
	s_andn2_b64 vcc, exec, s[4:5]
	s_cbranch_vccnz .LBB2_464
; %bb.463:                              ;   in Loop: Header=BB2_84 Depth=1
	s_add_u32 s8, s36, 0x1000
	s_addc_u32 s9, s37, 0
	s_mov_b64 s[4:5], s[38:39]
	s_mov_b64 s[10:11], s[34:35]
	s_mov_b32 s12, s45
	s_mov_b32 s13, s44
	;; [unrolled: 1-line block ×3, first 2 shown]
	v_mov_b32_e32 v31, v40
	s_getpc_b64 s[6:7]
	s_add_u32 s6, s6, _Z50ncclDevFunc_Reduce_RING_SIMPLE_MinMax_f8e4m3_0_0_4v@rel32@lo+4
	s_addc_u32 s7, s7, _Z50ncclDevFunc_Reduce_RING_SIMPLE_MinMax_f8e4m3_0_0_4v@rel32@hi+12
	s_swappc_b64 s[30:31], s[6:7]
.LBB2_464:                              ;   in Loop: Header=BB2_84 Depth=1
	s_mov_b64 s[4:5], 0
.LBB2_465:                              ;   in Loop: Header=BB2_84 Depth=1
	s_andn2_b64 vcc, exec, s[4:5]
	s_cbranch_vccnz .LBB2_467
; %bb.466:                              ;   in Loop: Header=BB2_84 Depth=1
	s_add_u32 s8, s36, 0x1000
	s_addc_u32 s9, s37, 0
	s_mov_b64 s[4:5], s[38:39]
	s_mov_b64 s[10:11], s[34:35]
	s_mov_b32 s12, s45
	s_mov_b32 s13, s44
	;; [unrolled: 1-line block ×3, first 2 shown]
	v_mov_b32_e32 v31, v40
	s_getpc_b64 s[6:7]
	s_add_u32 s6, s6, _Z48ncclDevFunc_Reduce_RING_SIMPLE_MinMax_bf16_0_1_4v@rel32@lo+4
	s_addc_u32 s7, s7, _Z48ncclDevFunc_Reduce_RING_SIMPLE_MinMax_bf16_0_1_4v@rel32@hi+12
	s_swappc_b64 s[30:31], s[6:7]
.LBB2_467:                              ;   in Loop: Header=BB2_84 Depth=1
	s_mov_b64 s[4:5], 0
.LBB2_468:                              ;   in Loop: Header=BB2_84 Depth=1
	s_and_b64 vcc, exec, s[4:5]
	s_cbranch_vccz .LBB2_477
; %bb.469:                              ;   in Loop: Header=BB2_84 Depth=1
	v_cmp_lt_i16_e64 s[6:7], s53, 28
	s_mov_b64 s[4:5], -1
	s_and_b64 vcc, exec, s[6:7]
	s_cbranch_vccnz .LBB2_475
; %bb.470:                              ;   in Loop: Header=BB2_84 Depth=1
	v_cmp_ne_u16_e64 s[6:7], s53, 28
	s_and_b64 vcc, exec, s[6:7]
	s_cbranch_vccz .LBB2_472
; %bb.471:                              ;   in Loop: Header=BB2_84 Depth=1
	s_add_u32 s8, s36, 0x1000
	s_addc_u32 s9, s37, 0
	s_mov_b64 s[4:5], s[38:39]
	s_mov_b64 s[10:11], s[34:35]
	s_mov_b32 s12, s45
	s_mov_b32 s13, s44
	;; [unrolled: 1-line block ×3, first 2 shown]
	v_mov_b32_e32 v31, v40
	s_getpc_b64 s[6:7]
	s_add_u32 s6, s6, _Z48ncclDevFunc_Reduce_RING_SIMPLE_MinMax_bf16_0_0_4v@rel32@lo+4
	s_addc_u32 s7, s7, _Z48ncclDevFunc_Reduce_RING_SIMPLE_MinMax_bf16_0_0_4v@rel32@hi+12
	s_swappc_b64 s[30:31], s[6:7]
	s_mov_b64 s[4:5], 0
.LBB2_472:                              ;   in Loop: Header=BB2_84 Depth=1
	s_andn2_b64 vcc, exec, s[4:5]
	s_cbranch_vccnz .LBB2_474
; %bb.473:                              ;   in Loop: Header=BB2_84 Depth=1
	s_add_u32 s8, s36, 0x1000
	s_addc_u32 s9, s37, 0
	s_mov_b64 s[4:5], s[38:39]
	s_mov_b64 s[10:11], s[34:35]
	s_mov_b32 s12, s45
	s_mov_b32 s13, s44
	;; [unrolled: 1-line block ×3, first 2 shown]
	v_mov_b32_e32 v31, v40
	s_getpc_b64 s[6:7]
	s_add_u32 s6, s6, _Z47ncclDevFunc_Reduce_RING_SIMPLE_MinMax_f64_0_0_4v@rel32@lo+4
	s_addc_u32 s7, s7, _Z47ncclDevFunc_Reduce_RING_SIMPLE_MinMax_f64_0_0_4v@rel32@hi+12
	s_swappc_b64 s[30:31], s[6:7]
.LBB2_474:                              ;   in Loop: Header=BB2_84 Depth=1
	s_mov_b64 s[4:5], 0
.LBB2_475:                              ;   in Loop: Header=BB2_84 Depth=1
	s_andn2_b64 vcc, exec, s[4:5]
	s_cbranch_vccnz .LBB2_477
; %bb.476:                              ;   in Loop: Header=BB2_84 Depth=1
	s_add_u32 s8, s36, 0x1000
	s_addc_u32 s9, s37, 0
	s_mov_b64 s[4:5], s[38:39]
	s_mov_b64 s[10:11], s[34:35]
	s_mov_b32 s12, s45
	s_mov_b32 s13, s44
	;; [unrolled: 1-line block ×3, first 2 shown]
	v_mov_b32_e32 v31, v40
	s_getpc_b64 s[6:7]
	s_add_u32 s6, s6, _Z47ncclDevFunc_Reduce_RING_SIMPLE_MinMax_f32_0_0_4v@rel32@lo+4
	s_addc_u32 s7, s7, _Z47ncclDevFunc_Reduce_RING_SIMPLE_MinMax_f32_0_0_4v@rel32@hi+12
	s_swappc_b64 s[30:31], s[6:7]
.LBB2_477:                              ;   in Loop: Header=BB2_84 Depth=1
	s_mov_b64 s[4:5], 0
.LBB2_478:                              ;   in Loop: Header=BB2_84 Depth=1
	s_andn2_b64 vcc, exec, s[4:5]
	s_cbranch_vccnz .LBB2_494
; %bb.479:                              ;   in Loop: Header=BB2_84 Depth=1
	s_cmp_gt_u32 s53, 23
	s_mov_b64 s[4:5], -1
	s_cbranch_scc0 .LBB2_489
; %bb.480:                              ;   in Loop: Header=BB2_84 Depth=1
	v_cmp_lt_i16_e64 s[6:7], s53, 25
	s_and_b64 vcc, exec, s[6:7]
	s_cbranch_vccnz .LBB2_486
; %bb.481:                              ;   in Loop: Header=BB2_84 Depth=1
	v_cmp_ne_u16_e64 s[6:7], s53, 25
	s_and_b64 vcc, exec, s[6:7]
	s_cbranch_vccz .LBB2_483
; %bb.482:                              ;   in Loop: Header=BB2_84 Depth=1
	s_add_u32 s8, s36, 0x1000
	s_addc_u32 s9, s37, 0
	s_mov_b64 s[4:5], s[38:39]
	s_mov_b64 s[10:11], s[34:35]
	s_mov_b32 s12, s45
	s_mov_b32 s13, s44
	s_mov_b32 s14, s33
	v_mov_b32_e32 v31, v40
	s_getpc_b64 s[6:7]
	s_add_u32 s6, s6, _Z47ncclDevFunc_Reduce_RING_SIMPLE_MinMax_f16_0_0_4v@rel32@lo+4
	s_addc_u32 s7, s7, _Z47ncclDevFunc_Reduce_RING_SIMPLE_MinMax_f16_0_0_4v@rel32@hi+12
	s_swappc_b64 s[30:31], s[6:7]
	s_mov_b64 s[4:5], 0
.LBB2_483:                              ;   in Loop: Header=BB2_84 Depth=1
	s_andn2_b64 vcc, exec, s[4:5]
	s_cbranch_vccnz .LBB2_485
; %bb.484:                              ;   in Loop: Header=BB2_84 Depth=1
	s_add_u32 s8, s36, 0x1000
	s_addc_u32 s9, s37, 0
	s_mov_b64 s[4:5], s[38:39]
	s_mov_b64 s[10:11], s[34:35]
	s_mov_b32 s12, s45
	s_mov_b32 s13, s44
	;; [unrolled: 1-line block ×3, first 2 shown]
	v_mov_b32_e32 v31, v40
	s_getpc_b64 s[6:7]
	s_add_u32 s6, s6, _Z47ncclDevFunc_Reduce_RING_SIMPLE_MinMax_u64_0_0_4v@rel32@lo+4
	s_addc_u32 s7, s7, _Z47ncclDevFunc_Reduce_RING_SIMPLE_MinMax_u64_0_0_4v@rel32@hi+12
	s_swappc_b64 s[30:31], s[6:7]
.LBB2_485:                              ;   in Loop: Header=BB2_84 Depth=1
	s_mov_b64 s[4:5], 0
.LBB2_486:                              ;   in Loop: Header=BB2_84 Depth=1
	s_andn2_b64 vcc, exec, s[4:5]
	s_cbranch_vccnz .LBB2_488
; %bb.487:                              ;   in Loop: Header=BB2_84 Depth=1
	s_add_u32 s8, s36, 0x1000
	s_addc_u32 s9, s37, 0
	s_mov_b64 s[4:5], s[38:39]
	s_mov_b64 s[10:11], s[34:35]
	s_mov_b32 s12, s45
	s_mov_b32 s13, s44
	;; [unrolled: 1-line block ×3, first 2 shown]
	v_mov_b32_e32 v31, v40
	s_getpc_b64 s[6:7]
	s_add_u32 s6, s6, _Z47ncclDevFunc_Reduce_RING_SIMPLE_MinMax_u32_0_0_4v@rel32@lo+4
	s_addc_u32 s7, s7, _Z47ncclDevFunc_Reduce_RING_SIMPLE_MinMax_u32_0_0_4v@rel32@hi+12
	s_swappc_b64 s[30:31], s[6:7]
.LBB2_488:                              ;   in Loop: Header=BB2_84 Depth=1
	s_mov_b64 s[4:5], 0
.LBB2_489:                              ;   in Loop: Header=BB2_84 Depth=1
	s_and_b64 vcc, exec, s[4:5]
	s_cbranch_vccz .LBB2_494
; %bb.490:                              ;   in Loop: Header=BB2_84 Depth=1
	s_cmp_eq_u32 s53, 23
	s_mov_b64 s[4:5], -1
	s_cbranch_scc1 .LBB2_492
; %bb.491:                              ;   in Loop: Header=BB2_84 Depth=1
	s_add_u32 s8, s36, 0x1000
	s_addc_u32 s9, s37, 0
	s_mov_b64 s[4:5], s[38:39]
	s_mov_b64 s[10:11], s[34:35]
	s_mov_b32 s12, s45
	s_mov_b32 s13, s44
	;; [unrolled: 1-line block ×3, first 2 shown]
	v_mov_b32_e32 v31, v40
	s_getpc_b64 s[6:7]
	s_add_u32 s6, s6, _Z48ncclDevFunc_Reduce_RING_SIMPLE_Prod_f8e5m2_0_0_4v@rel32@lo+4
	s_addc_u32 s7, s7, _Z48ncclDevFunc_Reduce_RING_SIMPLE_Prod_f8e5m2_0_0_4v@rel32@hi+12
	s_swappc_b64 s[30:31], s[6:7]
	s_mov_b64 s[4:5], 0
.LBB2_492:                              ;   in Loop: Header=BB2_84 Depth=1
	s_andn2_b64 vcc, exec, s[4:5]
	s_cbranch_vccnz .LBB2_494
; %bb.493:                              ;   in Loop: Header=BB2_84 Depth=1
	s_add_u32 s8, s36, 0x1000
	s_addc_u32 s9, s37, 0
	s_mov_b64 s[4:5], s[38:39]
	s_mov_b64 s[10:11], s[34:35]
	s_mov_b32 s12, s45
	s_mov_b32 s13, s44
	;; [unrolled: 1-line block ×3, first 2 shown]
	v_mov_b32_e32 v31, v40
	s_getpc_b64 s[6:7]
	s_add_u32 s6, s6, _Z46ncclDevFunc_Reduce_RING_SIMPLE_MinMax_u8_0_0_4v@rel32@lo+4
	s_addc_u32 s7, s7, _Z46ncclDevFunc_Reduce_RING_SIMPLE_MinMax_u8_0_0_4v@rel32@hi+12
	s_swappc_b64 s[30:31], s[6:7]
.LBB2_494:                              ;   in Loop: Header=BB2_84 Depth=1
	s_mov_b64 s[4:5], 0
.LBB2_495:                              ;   in Loop: Header=BB2_84 Depth=1
	s_andn2_b64 vcc, exec, s[4:5]
	s_cbranch_vccnz .LBB2_570
; %bb.496:                              ;   in Loop: Header=BB2_84 Depth=1
	s_cmp_gt_u32 s53, 10
	s_mov_b64 s[4:5], -1
	s_cbranch_scc0 .LBB2_535
; %bb.497:                              ;   in Loop: Header=BB2_84 Depth=1
	s_cmp_gt_u32 s53, 15
	s_cbranch_scc0 .LBB2_518
; %bb.498:                              ;   in Loop: Header=BB2_84 Depth=1
	s_cmp_gt_u32 s53, 18
	s_cbranch_scc0 .LBB2_508
; %bb.499:                              ;   in Loop: Header=BB2_84 Depth=1
	v_cmp_lt_i16_e64 s[6:7], s53, 20
	s_and_b64 vcc, exec, s[6:7]
	s_cbranch_vccnz .LBB2_505
; %bb.500:                              ;   in Loop: Header=BB2_84 Depth=1
	v_cmp_ne_u16_e64 s[6:7], s53, 20
	s_and_b64 vcc, exec, s[6:7]
	s_cbranch_vccz .LBB2_502
; %bb.501:                              ;   in Loop: Header=BB2_84 Depth=1
	s_add_u32 s8, s36, 0x1000
	s_addc_u32 s9, s37, 0
	s_mov_b64 s[4:5], s[38:39]
	s_mov_b64 s[10:11], s[34:35]
	s_mov_b32 s12, s45
	s_mov_b32 s13, s44
	;; [unrolled: 1-line block ×3, first 2 shown]
	v_mov_b32_e32 v31, v40
	s_getpc_b64 s[6:7]
	s_add_u32 s6, s6, _Z48ncclDevFunc_Reduce_RING_SIMPLE_Prod_f8e4m3_0_0_4v@rel32@lo+4
	s_addc_u32 s7, s7, _Z48ncclDevFunc_Reduce_RING_SIMPLE_Prod_f8e4m3_0_0_4v@rel32@hi+12
	s_swappc_b64 s[30:31], s[6:7]
	s_mov_b64 s[4:5], 0
.LBB2_502:                              ;   in Loop: Header=BB2_84 Depth=1
	s_andn2_b64 vcc, exec, s[4:5]
	s_cbranch_vccnz .LBB2_504
; %bb.503:                              ;   in Loop: Header=BB2_84 Depth=1
	s_add_u32 s8, s36, 0x1000
	s_addc_u32 s9, s37, 0
	s_mov_b64 s[4:5], s[38:39]
	s_mov_b64 s[10:11], s[34:35]
	s_mov_b32 s12, s45
	s_mov_b32 s13, s44
	;; [unrolled: 1-line block ×3, first 2 shown]
	v_mov_b32_e32 v31, v40
	s_getpc_b64 s[6:7]
	s_add_u32 s6, s6, _Z46ncclDevFunc_Reduce_RING_SIMPLE_Prod_bf16_0_1_4v@rel32@lo+4
	s_addc_u32 s7, s7, _Z46ncclDevFunc_Reduce_RING_SIMPLE_Prod_bf16_0_1_4v@rel32@hi+12
	s_swappc_b64 s[30:31], s[6:7]
.LBB2_504:                              ;   in Loop: Header=BB2_84 Depth=1
	s_mov_b64 s[4:5], 0
.LBB2_505:                              ;   in Loop: Header=BB2_84 Depth=1
	s_andn2_b64 vcc, exec, s[4:5]
	s_cbranch_vccnz .LBB2_507
; %bb.506:                              ;   in Loop: Header=BB2_84 Depth=1
	s_add_u32 s8, s36, 0x1000
	s_addc_u32 s9, s37, 0
	s_mov_b64 s[4:5], s[38:39]
	s_mov_b64 s[10:11], s[34:35]
	s_mov_b32 s12, s45
	s_mov_b32 s13, s44
	;; [unrolled: 1-line block ×3, first 2 shown]
	v_mov_b32_e32 v31, v40
	s_getpc_b64 s[6:7]
	s_add_u32 s6, s6, _Z46ncclDevFunc_Reduce_RING_SIMPLE_Prod_bf16_0_0_4v@rel32@lo+4
	s_addc_u32 s7, s7, _Z46ncclDevFunc_Reduce_RING_SIMPLE_Prod_bf16_0_0_4v@rel32@hi+12
	s_swappc_b64 s[30:31], s[6:7]
.LBB2_507:                              ;   in Loop: Header=BB2_84 Depth=1
	s_mov_b64 s[4:5], 0
.LBB2_508:                              ;   in Loop: Header=BB2_84 Depth=1
	s_and_b64 vcc, exec, s[4:5]
	s_cbranch_vccz .LBB2_517
; %bb.509:                              ;   in Loop: Header=BB2_84 Depth=1
	v_cmp_lt_i16_e64 s[6:7], s53, 17
	s_mov_b64 s[4:5], -1
	s_and_b64 vcc, exec, s[6:7]
	s_cbranch_vccnz .LBB2_515
; %bb.510:                              ;   in Loop: Header=BB2_84 Depth=1
	v_cmp_ne_u16_e64 s[6:7], s53, 17
	s_and_b64 vcc, exec, s[6:7]
	s_cbranch_vccz .LBB2_512
; %bb.511:                              ;   in Loop: Header=BB2_84 Depth=1
	s_add_u32 s8, s36, 0x1000
	s_addc_u32 s9, s37, 0
	s_mov_b64 s[4:5], s[38:39]
	s_mov_b64 s[10:11], s[34:35]
	s_mov_b32 s12, s45
	s_mov_b32 s13, s44
	;; [unrolled: 1-line block ×3, first 2 shown]
	v_mov_b32_e32 v31, v40
	s_getpc_b64 s[6:7]
	s_add_u32 s6, s6, _Z45ncclDevFunc_Reduce_RING_SIMPLE_Prod_f64_0_0_4v@rel32@lo+4
	s_addc_u32 s7, s7, _Z45ncclDevFunc_Reduce_RING_SIMPLE_Prod_f64_0_0_4v@rel32@hi+12
	s_swappc_b64 s[30:31], s[6:7]
	s_mov_b64 s[4:5], 0
.LBB2_512:                              ;   in Loop: Header=BB2_84 Depth=1
	s_andn2_b64 vcc, exec, s[4:5]
	s_cbranch_vccnz .LBB2_514
; %bb.513:                              ;   in Loop: Header=BB2_84 Depth=1
	s_add_u32 s8, s36, 0x1000
	s_addc_u32 s9, s37, 0
	s_mov_b64 s[4:5], s[38:39]
	s_mov_b64 s[10:11], s[34:35]
	s_mov_b32 s12, s45
	s_mov_b32 s13, s44
	;; [unrolled: 1-line block ×3, first 2 shown]
	v_mov_b32_e32 v31, v40
	s_getpc_b64 s[6:7]
	s_add_u32 s6, s6, _Z45ncclDevFunc_Reduce_RING_SIMPLE_Prod_f32_0_0_4v@rel32@lo+4
	s_addc_u32 s7, s7, _Z45ncclDevFunc_Reduce_RING_SIMPLE_Prod_f32_0_0_4v@rel32@hi+12
	s_swappc_b64 s[30:31], s[6:7]
.LBB2_514:                              ;   in Loop: Header=BB2_84 Depth=1
	s_mov_b64 s[4:5], 0
.LBB2_515:                              ;   in Loop: Header=BB2_84 Depth=1
	s_andn2_b64 vcc, exec, s[4:5]
	s_cbranch_vccnz .LBB2_517
; %bb.516:                              ;   in Loop: Header=BB2_84 Depth=1
	s_add_u32 s8, s36, 0x1000
	s_addc_u32 s9, s37, 0
	s_mov_b64 s[4:5], s[38:39]
	s_mov_b64 s[10:11], s[34:35]
	s_mov_b32 s12, s45
	s_mov_b32 s13, s44
	;; [unrolled: 1-line block ×3, first 2 shown]
	v_mov_b32_e32 v31, v40
	s_getpc_b64 s[6:7]
	s_add_u32 s6, s6, _Z45ncclDevFunc_Reduce_RING_SIMPLE_Prod_f16_0_0_4v@rel32@lo+4
	s_addc_u32 s7, s7, _Z45ncclDevFunc_Reduce_RING_SIMPLE_Prod_f16_0_0_4v@rel32@hi+12
	s_swappc_b64 s[30:31], s[6:7]
.LBB2_517:                              ;   in Loop: Header=BB2_84 Depth=1
	s_mov_b64 s[4:5], 0
.LBB2_518:                              ;   in Loop: Header=BB2_84 Depth=1
	s_andn2_b64 vcc, exec, s[4:5]
	s_cbranch_vccnz .LBB2_534
; %bb.519:                              ;   in Loop: Header=BB2_84 Depth=1
	s_cmp_gt_u32 s53, 12
	s_mov_b64 s[4:5], -1
	s_cbranch_scc0 .LBB2_529
; %bb.520:                              ;   in Loop: Header=BB2_84 Depth=1
	v_cmp_lt_i16_e64 s[6:7], s53, 14
	s_and_b64 vcc, exec, s[6:7]
	s_cbranch_vccnz .LBB2_526
; %bb.521:                              ;   in Loop: Header=BB2_84 Depth=1
	v_cmp_ne_u16_e64 s[6:7], s53, 14
	s_and_b64 vcc, exec, s[6:7]
	s_cbranch_vccz .LBB2_523
; %bb.522:                              ;   in Loop: Header=BB2_84 Depth=1
	s_add_u32 s8, s36, 0x1000
	s_addc_u32 s9, s37, 0
	s_mov_b64 s[4:5], s[38:39]
	s_mov_b64 s[10:11], s[34:35]
	s_mov_b32 s12, s45
	s_mov_b32 s13, s44
	;; [unrolled: 1-line block ×3, first 2 shown]
	v_mov_b32_e32 v31, v40
	s_getpc_b64 s[6:7]
	s_add_u32 s6, s6, _Z45ncclDevFunc_Reduce_RING_SIMPLE_Prod_u64_0_0_4v@rel32@lo+4
	s_addc_u32 s7, s7, _Z45ncclDevFunc_Reduce_RING_SIMPLE_Prod_u64_0_0_4v@rel32@hi+12
	s_swappc_b64 s[30:31], s[6:7]
	s_mov_b64 s[4:5], 0
.LBB2_523:                              ;   in Loop: Header=BB2_84 Depth=1
	s_andn2_b64 vcc, exec, s[4:5]
	s_cbranch_vccnz .LBB2_525
; %bb.524:                              ;   in Loop: Header=BB2_84 Depth=1
	s_add_u32 s8, s36, 0x1000
	s_addc_u32 s9, s37, 0
	s_mov_b64 s[4:5], s[38:39]
	s_mov_b64 s[10:11], s[34:35]
	s_mov_b32 s12, s45
	s_mov_b32 s13, s44
	;; [unrolled: 1-line block ×3, first 2 shown]
	v_mov_b32_e32 v31, v40
	s_getpc_b64 s[6:7]
	s_add_u32 s6, s6, _Z45ncclDevFunc_Reduce_RING_SIMPLE_Prod_u32_0_0_4v@rel32@lo+4
	s_addc_u32 s7, s7, _Z45ncclDevFunc_Reduce_RING_SIMPLE_Prod_u32_0_0_4v@rel32@hi+12
	s_swappc_b64 s[30:31], s[6:7]
.LBB2_525:                              ;   in Loop: Header=BB2_84 Depth=1
	s_mov_b64 s[4:5], 0
.LBB2_526:                              ;   in Loop: Header=BB2_84 Depth=1
	s_andn2_b64 vcc, exec, s[4:5]
	s_cbranch_vccnz .LBB2_528
; %bb.527:                              ;   in Loop: Header=BB2_84 Depth=1
	s_add_u32 s8, s36, 0x1000
	s_addc_u32 s9, s37, 0
	s_mov_b64 s[4:5], s[38:39]
	s_mov_b64 s[10:11], s[34:35]
	s_mov_b32 s12, s45
	s_mov_b32 s13, s44
	;; [unrolled: 1-line block ×3, first 2 shown]
	v_mov_b32_e32 v31, v40
	s_getpc_b64 s[6:7]
	s_add_u32 s6, s6, _Z44ncclDevFunc_Reduce_RING_SIMPLE_Prod_u8_0_0_4v@rel32@lo+4
	s_addc_u32 s7, s7, _Z44ncclDevFunc_Reduce_RING_SIMPLE_Prod_u8_0_0_4v@rel32@hi+12
	s_swappc_b64 s[30:31], s[6:7]
.LBB2_528:                              ;   in Loop: Header=BB2_84 Depth=1
	s_mov_b64 s[4:5], 0
.LBB2_529:                              ;   in Loop: Header=BB2_84 Depth=1
	s_and_b64 vcc, exec, s[4:5]
	s_cbranch_vccz .LBB2_534
; %bb.530:                              ;   in Loop: Header=BB2_84 Depth=1
	s_cmp_eq_u32 s53, 12
	s_mov_b64 s[4:5], -1
	s_cbranch_scc1 .LBB2_532
; %bb.531:                              ;   in Loop: Header=BB2_84 Depth=1
	s_add_u32 s8, s36, 0x1000
	s_addc_u32 s9, s37, 0
	s_mov_b64 s[4:5], s[38:39]
	s_mov_b64 s[10:11], s[34:35]
	s_mov_b32 s12, s45
	s_mov_b32 s13, s44
	;; [unrolled: 1-line block ×3, first 2 shown]
	v_mov_b32_e32 v31, v40
	s_getpc_b64 s[6:7]
	s_add_u32 s6, s6, _Z47ncclDevFunc_Reduce_RING_SIMPLE_Sum_f8e4m3_0_0_4v@rel32@lo+4
	s_addc_u32 s7, s7, _Z47ncclDevFunc_Reduce_RING_SIMPLE_Sum_f8e4m3_0_0_4v@rel32@hi+12
	s_swappc_b64 s[30:31], s[6:7]
	s_mov_b64 s[4:5], 0
.LBB2_532:                              ;   in Loop: Header=BB2_84 Depth=1
	s_andn2_b64 vcc, exec, s[4:5]
	s_cbranch_vccnz .LBB2_534
; %bb.533:                              ;   in Loop: Header=BB2_84 Depth=1
	s_add_u32 s8, s36, 0x1000
	s_addc_u32 s9, s37, 0
	s_mov_b64 s[4:5], s[38:39]
	s_mov_b64 s[10:11], s[34:35]
	s_mov_b32 s12, s45
	s_mov_b32 s13, s44
	;; [unrolled: 1-line block ×3, first 2 shown]
	v_mov_b32_e32 v31, v40
	s_getpc_b64 s[6:7]
	s_add_u32 s6, s6, _Z47ncclDevFunc_Reduce_RING_SIMPLE_Sum_f8e5m2_0_0_4v@rel32@lo+4
	s_addc_u32 s7, s7, _Z47ncclDevFunc_Reduce_RING_SIMPLE_Sum_f8e5m2_0_0_4v@rel32@hi+12
	s_swappc_b64 s[30:31], s[6:7]
.LBB2_534:                              ;   in Loop: Header=BB2_84 Depth=1
	s_mov_b64 s[4:5], 0
.LBB2_535:                              ;   in Loop: Header=BB2_84 Depth=1
	s_andn2_b64 vcc, exec, s[4:5]
	s_cbranch_vccnz .LBB2_570
; %bb.536:                              ;   in Loop: Header=BB2_84 Depth=1
	s_cmp_gt_u32 s53, 4
	s_mov_b64 s[4:5], -1
	s_cbranch_scc0 .LBB2_557
; %bb.537:                              ;   in Loop: Header=BB2_84 Depth=1
	s_cmp_gt_u32 s53, 7
	s_cbranch_scc0 .LBB2_547
; %bb.538:                              ;   in Loop: Header=BB2_84 Depth=1
	v_cmp_lt_i16_e64 s[6:7], s53, 9
	s_and_b64 vcc, exec, s[6:7]
	s_cbranch_vccnz .LBB2_544
; %bb.539:                              ;   in Loop: Header=BB2_84 Depth=1
	v_cmp_ne_u16_e64 s[6:7], s53, 9
	s_and_b64 vcc, exec, s[6:7]
	s_cbranch_vccz .LBB2_541
; %bb.540:                              ;   in Loop: Header=BB2_84 Depth=1
	s_add_u32 s8, s36, 0x1000
	s_addc_u32 s9, s37, 0
	s_mov_b64 s[4:5], s[38:39]
	s_mov_b64 s[10:11], s[34:35]
	s_mov_b32 s12, s45
	s_mov_b32 s13, s44
	;; [unrolled: 1-line block ×3, first 2 shown]
	v_mov_b32_e32 v31, v40
	s_getpc_b64 s[6:7]
	s_add_u32 s6, s6, _Z45ncclDevFunc_Reduce_RING_SIMPLE_Sum_bf16_0_1_4v@rel32@lo+4
	s_addc_u32 s7, s7, _Z45ncclDevFunc_Reduce_RING_SIMPLE_Sum_bf16_0_1_4v@rel32@hi+12
	s_swappc_b64 s[30:31], s[6:7]
	s_mov_b64 s[4:5], 0
.LBB2_541:                              ;   in Loop: Header=BB2_84 Depth=1
	s_andn2_b64 vcc, exec, s[4:5]
	s_cbranch_vccnz .LBB2_543
; %bb.542:                              ;   in Loop: Header=BB2_84 Depth=1
	s_add_u32 s8, s36, 0x1000
	s_addc_u32 s9, s37, 0
	s_mov_b64 s[4:5], s[38:39]
	s_mov_b64 s[10:11], s[34:35]
	s_mov_b32 s12, s45
	s_mov_b32 s13, s44
	;; [unrolled: 1-line block ×3, first 2 shown]
	v_mov_b32_e32 v31, v40
	s_getpc_b64 s[6:7]
	s_add_u32 s6, s6, _Z45ncclDevFunc_Reduce_RING_SIMPLE_Sum_bf16_0_0_4v@rel32@lo+4
	s_addc_u32 s7, s7, _Z45ncclDevFunc_Reduce_RING_SIMPLE_Sum_bf16_0_0_4v@rel32@hi+12
	s_swappc_b64 s[30:31], s[6:7]
.LBB2_543:                              ;   in Loop: Header=BB2_84 Depth=1
	s_mov_b64 s[4:5], 0
.LBB2_544:                              ;   in Loop: Header=BB2_84 Depth=1
	s_andn2_b64 vcc, exec, s[4:5]
	s_cbranch_vccnz .LBB2_546
; %bb.545:                              ;   in Loop: Header=BB2_84 Depth=1
	s_add_u32 s8, s36, 0x1000
	s_addc_u32 s9, s37, 0
	s_mov_b64 s[4:5], s[38:39]
	s_mov_b64 s[10:11], s[34:35]
	s_mov_b32 s12, s45
	s_mov_b32 s13, s44
	;; [unrolled: 1-line block ×3, first 2 shown]
	v_mov_b32_e32 v31, v40
	s_getpc_b64 s[6:7]
	s_add_u32 s6, s6, _Z44ncclDevFunc_Reduce_RING_SIMPLE_Sum_f64_0_0_4v@rel32@lo+4
	s_addc_u32 s7, s7, _Z44ncclDevFunc_Reduce_RING_SIMPLE_Sum_f64_0_0_4v@rel32@hi+12
	s_swappc_b64 s[30:31], s[6:7]
.LBB2_546:                              ;   in Loop: Header=BB2_84 Depth=1
	s_mov_b64 s[4:5], 0
.LBB2_547:                              ;   in Loop: Header=BB2_84 Depth=1
	s_and_b64 vcc, exec, s[4:5]
	s_cbranch_vccz .LBB2_556
; %bb.548:                              ;   in Loop: Header=BB2_84 Depth=1
	v_cmp_lt_i16_e64 s[6:7], s53, 6
	s_mov_b64 s[4:5], -1
	s_and_b64 vcc, exec, s[6:7]
	s_cbranch_vccnz .LBB2_554
; %bb.549:                              ;   in Loop: Header=BB2_84 Depth=1
	v_cmp_ne_u16_e64 s[6:7], s53, 6
	s_and_b64 vcc, exec, s[6:7]
	s_cbranch_vccz .LBB2_551
; %bb.550:                              ;   in Loop: Header=BB2_84 Depth=1
	s_add_u32 s8, s36, 0x1000
	s_addc_u32 s9, s37, 0
	s_mov_b64 s[4:5], s[38:39]
	s_mov_b64 s[10:11], s[34:35]
	s_mov_b32 s12, s45
	s_mov_b32 s13, s44
	;; [unrolled: 1-line block ×3, first 2 shown]
	v_mov_b32_e32 v31, v40
	s_getpc_b64 s[6:7]
	s_add_u32 s6, s6, _Z44ncclDevFunc_Reduce_RING_SIMPLE_Sum_f32_0_0_4v@rel32@lo+4
	s_addc_u32 s7, s7, _Z44ncclDevFunc_Reduce_RING_SIMPLE_Sum_f32_0_0_4v@rel32@hi+12
	s_swappc_b64 s[30:31], s[6:7]
	s_mov_b64 s[4:5], 0
.LBB2_551:                              ;   in Loop: Header=BB2_84 Depth=1
	s_andn2_b64 vcc, exec, s[4:5]
	s_cbranch_vccnz .LBB2_553
; %bb.552:                              ;   in Loop: Header=BB2_84 Depth=1
	s_add_u32 s8, s36, 0x1000
	s_addc_u32 s9, s37, 0
	s_mov_b64 s[4:5], s[38:39]
	s_mov_b64 s[10:11], s[34:35]
	s_mov_b32 s12, s45
	s_mov_b32 s13, s44
	;; [unrolled: 1-line block ×3, first 2 shown]
	v_mov_b32_e32 v31, v40
	s_getpc_b64 s[6:7]
	s_add_u32 s6, s6, _Z44ncclDevFunc_Reduce_RING_SIMPLE_Sum_f16_0_0_4v@rel32@lo+4
	s_addc_u32 s7, s7, _Z44ncclDevFunc_Reduce_RING_SIMPLE_Sum_f16_0_0_4v@rel32@hi+12
	s_swappc_b64 s[30:31], s[6:7]
.LBB2_553:                              ;   in Loop: Header=BB2_84 Depth=1
	s_mov_b64 s[4:5], 0
.LBB2_554:                              ;   in Loop: Header=BB2_84 Depth=1
	s_andn2_b64 vcc, exec, s[4:5]
	s_cbranch_vccnz .LBB2_556
; %bb.555:                              ;   in Loop: Header=BB2_84 Depth=1
	s_add_u32 s8, s36, 0x1000
	s_addc_u32 s9, s37, 0
	s_mov_b64 s[4:5], s[38:39]
	s_mov_b64 s[10:11], s[34:35]
	s_mov_b32 s12, s45
	s_mov_b32 s13, s44
	;; [unrolled: 1-line block ×3, first 2 shown]
	v_mov_b32_e32 v31, v40
	s_getpc_b64 s[6:7]
	s_add_u32 s6, s6, _Z44ncclDevFunc_Reduce_RING_SIMPLE_Sum_u64_0_0_4v@rel32@lo+4
	s_addc_u32 s7, s7, _Z44ncclDevFunc_Reduce_RING_SIMPLE_Sum_u64_0_0_4v@rel32@hi+12
	s_swappc_b64 s[30:31], s[6:7]
.LBB2_556:                              ;   in Loop: Header=BB2_84 Depth=1
	s_mov_b64 s[4:5], 0
.LBB2_557:                              ;   in Loop: Header=BB2_84 Depth=1
	s_andn2_b64 vcc, exec, s[4:5]
	s_cbranch_vccnz .LBB2_570
; %bb.558:                              ;   in Loop: Header=BB2_84 Depth=1
	s_cmp_gt_u32 s53, 1
	s_mov_b64 s[4:5], -1
	s_cbranch_scc0 .LBB2_568
; %bb.559:                              ;   in Loop: Header=BB2_84 Depth=1
	v_cmp_lt_i16_e64 s[6:7], s53, 3
	s_and_b64 vcc, exec, s[6:7]
	s_cbranch_vccnz .LBB2_565
; %bb.560:                              ;   in Loop: Header=BB2_84 Depth=1
	v_cmp_ne_u16_e64 s[6:7], s53, 3
	s_and_b64 vcc, exec, s[6:7]
	s_cbranch_vccz .LBB2_562
; %bb.561:                              ;   in Loop: Header=BB2_84 Depth=1
	s_add_u32 s8, s36, 0x1000
	s_addc_u32 s9, s37, 0
	s_mov_b64 s[4:5], s[38:39]
	s_mov_b64 s[10:11], s[34:35]
	s_mov_b32 s12, s45
	s_mov_b32 s13, s44
	;; [unrolled: 1-line block ×3, first 2 shown]
	v_mov_b32_e32 v31, v40
	s_getpc_b64 s[6:7]
	s_add_u32 s6, s6, _Z44ncclDevFunc_Reduce_RING_SIMPLE_Sum_u32_0_0_4v@rel32@lo+4
	s_addc_u32 s7, s7, _Z44ncclDevFunc_Reduce_RING_SIMPLE_Sum_u32_0_0_4v@rel32@hi+12
	s_swappc_b64 s[30:31], s[6:7]
	s_mov_b64 s[4:5], 0
.LBB2_562:                              ;   in Loop: Header=BB2_84 Depth=1
	s_andn2_b64 vcc, exec, s[4:5]
	s_cbranch_vccnz .LBB2_564
; %bb.563:                              ;   in Loop: Header=BB2_84 Depth=1
	s_add_u32 s8, s36, 0x1000
	s_addc_u32 s9, s37, 0
	s_mov_b64 s[4:5], s[38:39]
	s_mov_b64 s[10:11], s[34:35]
	s_mov_b32 s12, s45
	s_mov_b32 s13, s44
	;; [unrolled: 1-line block ×3, first 2 shown]
	v_mov_b32_e32 v31, v40
	s_getpc_b64 s[6:7]
	s_add_u32 s6, s6, _Z43ncclDevFunc_Reduce_RING_SIMPLE_Sum_u8_0_0_4v@rel32@lo+4
	s_addc_u32 s7, s7, _Z43ncclDevFunc_Reduce_RING_SIMPLE_Sum_u8_0_0_4v@rel32@hi+12
	s_swappc_b64 s[30:31], s[6:7]
.LBB2_564:                              ;   in Loop: Header=BB2_84 Depth=1
	s_mov_b64 s[4:5], 0
.LBB2_565:                              ;   in Loop: Header=BB2_84 Depth=1
	s_andn2_b64 vcc, exec, s[4:5]
	s_cbranch_vccnz .LBB2_567
; %bb.566:                              ;   in Loop: Header=BB2_84 Depth=1
	s_add_u32 s8, s36, 0x1000
	s_addc_u32 s9, s37, 0
	s_mov_b64 s[4:5], s[38:39]
	s_mov_b64 s[10:11], s[34:35]
	s_mov_b32 s12, s45
	s_mov_b32 s13, s44
	;; [unrolled: 1-line block ×3, first 2 shown]
	v_mov_b32_e32 v31, v40
	s_getpc_b64 s[6:7]
	s_add_u32 s6, s6, _Z46ncclDevFunc_Broadcast_RING_SIMPLE_Sum_i8_0_0_4v@rel32@lo+4
	s_addc_u32 s7, s7, _Z46ncclDevFunc_Broadcast_RING_SIMPLE_Sum_i8_0_0_4v@rel32@hi+12
	s_swappc_b64 s[30:31], s[6:7]
.LBB2_567:                              ;   in Loop: Header=BB2_84 Depth=1
	s_mov_b64 s[4:5], 0
.LBB2_568:                              ;   in Loop: Header=BB2_84 Depth=1
	s_and_b64 vcc, exec, s[4:5]
	s_cbranch_vccz .LBB2_570
; %bb.569:                              ;   in Loop: Header=BB2_84 Depth=1
	s_add_u32 s8, s36, 0x1000
	s_addc_u32 s9, s37, 0
	s_mov_b64 s[4:5], s[38:39]
	s_mov_b64 s[10:11], s[34:35]
	s_mov_b32 s12, s45
	s_mov_b32 s13, s44
	;; [unrolled: 1-line block ×3, first 2 shown]
	v_mov_b32_e32 v31, v40
	s_getpc_b64 s[6:7]
	s_add_u32 s6, s6, _Z42ncclDevFunc_Broadcast_RING_LL_Sum_i8_0_0_4v@rel32@lo+4
	s_addc_u32 s7, s7, _Z42ncclDevFunc_Broadcast_RING_LL_Sum_i8_0_0_4v@rel32@hi+12
	s_swappc_b64 s[30:31], s[6:7]
.LBB2_570:                              ;   in Loop: Header=BB2_84 Depth=1
	ds_read_b32 v0, v42 offset:16996
	s_waitcnt lgkmcnt(0)
	v_cmp_eq_u32_e32 vcc, -1, v0
	v_readfirstlane_b32 s12, v0
	s_cbranch_vccnz .LBB2_585
; %bb.571:                              ;   in Loop: Header=BB2_84 Depth=1
	s_barrier
	s_and_saveexec_b64 s[4:5], s[46:47]
	s_cbranch_execz .LBB2_575
; %bb.572:                              ;   in Loop: Header=BB2_84 Depth=1
	s_and_saveexec_b64 s[6:7], s[42:43]
	s_cbranch_execz .LBB2_574
; %bb.573:                              ;   in Loop: Header=BB2_84 Depth=1
	v_mov_b32_e32 v43, v42
	ds_write_b64 v42, v[42:43] offset:19736
.LBB2_574:                              ;   in Loop: Header=BB2_84 Depth=1
	s_or_b64 exec, exec, s[6:7]
	v_mov_b32_e32 v43, v42
	ds_write_b64 v41, v[42:43]
.LBB2_575:                              ;   in Loop: Header=BB2_84 Depth=1
	s_or_b64 exec, exec, s[4:5]
	s_and_saveexec_b64 s[4:5], s[40:41]
	s_cbranch_execz .LBB2_587
; %bb.576:                              ;   in Loop: Header=BB2_84 Depth=1
	ds_read_b64 v[2:3], v42 offset:16976
	ds_read_b32 v6, v42 offset:17004
	s_waitcnt lgkmcnt(0)
	v_add_co_u32_e32 v0, vcc, 1, v2
	v_addc_co_u32_e32 v1, vcc, 0, v3, vcc
	v_ashrrev_i32_e32 v5, 31, v6
	v_add_co_u32_e32 v4, vcc, v2, v6
	v_addc_co_u32_e32 v5, vcc, v3, v5, vcc
	v_cmp_gt_u64_e32 vcc, v[0:1], v[4:5]
	s_cbranch_vccnz .LBB2_586
; %bb.577:                              ;   in Loop: Header=BB2_84 Depth=1
	ds_read_u8 v7, v42 offset:17000
	s_movk_i32 s8, 0x494e
	s_movk_i32 s9, 0x491a
	s_branch .LBB2_579
.LBB2_578:                              ;   in Loop: Header=BB2_579 Depth=2
	v_add_co_u32_e32 v0, vcc, 1, v0
	v_addc_co_u32_e32 v1, vcc, 0, v1, vcc
	s_waitcnt lgkmcnt(0)
	v_ashrrev_i32_e32 v5, 31, v6
	v_add_co_u32_e32 v4, vcc, v2, v6
	v_addc_co_u32_e32 v5, vcc, v3, v5, vcc
	v_cmp_le_u64_e32 vcc, v[0:1], v[4:5]
	s_add_i32 s8, s8, 64
	s_addk_i32 s9, 0x80
	s_cbranch_vccz .LBB2_586
.LBB2_579:                              ;   Parent Loop BB2_84 Depth=1
                                        ; =>  This Inner Loop Header: Depth=2
	s_waitcnt lgkmcnt(0)
	v_cmp_ne_u16_sdwa s[6:7], v7, v42 src0_sel:BYTE_0 src1_sel:DWORD
	s_and_b64 vcc, exec, s[6:7]
	s_cbranch_vccz .LBB2_584
; %bb.580:                              ;   in Loop: Header=BB2_579 Depth=2
	v_mov_b32_e32 v4, s9
	ds_read_u8 v4, v4
	s_waitcnt lgkmcnt(0)
	v_and_b32_e32 v4, 1, v4
	s_cbranch_execnz .LBB2_582
.LBB2_581:                              ;   in Loop: Header=BB2_579 Depth=2
	v_mov_b32_e32 v4, s8
	ds_read_u16 v4, v4
	s_waitcnt lgkmcnt(0)
	v_bfe_u32 v4, v4, 6, 1
.LBB2_582:                              ;   in Loop: Header=BB2_579 Depth=2
	v_cmp_eq_u32_e32 vcc, 0, v4
	s_cbranch_vccnz .LBB2_578
; %bb.583:                              ;   in Loop: Header=BB2_579 Depth=2
	s_memrealtime s[6:7]
	ds_read_u8 v7, v42 offset:17000
	ds_read_b32 v2, v42 offset:16496
	ds_read_b64 v[4:5], v42 offset:16600
	s_waitcnt lgkmcnt(0)
	v_ashrrev_i32_e32 v3, 31, v2
	v_lshlrev_b64 v[2:3], 10, v[2:3]
	v_add_co_u32_e32 v2, vcc, v4, v2
	v_and_b32_e32 v4, 63, v0
	v_addc_co_u32_e32 v3, vcc, v5, v3, vcc
	v_lshlrev_b32_e32 v4, 4, v4
	v_add_co_u32_e32 v4, vcc, v2, v4
	v_addc_co_u32_e32 v5, vcc, 0, v3, vcc
	v_mov_b32_e32 v2, s6
	v_mov_b32_e32 v3, s7
	flat_store_dwordx4 v[4:5], v[0:3]
	ds_read_b64 v[2:3], v42 offset:16976
	ds_read_b32 v6, v42 offset:17004
	s_branch .LBB2_578
.LBB2_584:                              ;   in Loop: Header=BB2_579 Depth=2
                                        ; implicit-def: $vgpr4
	s_branch .LBB2_581
.LBB2_585:                              ;   in Loop: Header=BB2_84 Depth=1
	s_cbranch_execz .LBB2_84
	s_branch .LBB2_70
.LBB2_586:                              ;   in Loop: Header=BB2_84 Depth=1
	ds_write_b64 v42, v[4:5] offset:16976
.LBB2_587:                              ;   in Loop: Header=BB2_84 Depth=1
	s_or_b64 exec, exec, s[4:5]
	s_mov_b32 s14, 0
	v_mov_b32_e32 v9, v46
                                        ; implicit-def: $vgpr0_vgpr1_vgpr2_vgpr3
	s_branch .LBB2_590
.LBB2_588:                              ;   in Loop: Header=BB2_590 Depth=2
	s_or_b64 exec, exec, s[10:11]
	s_mov_b32 s9, s12
	v_mov_b32_e32 v4, v9
.LBB2_589:                              ;   in Loop: Header=BB2_590 Depth=2
	s_andn2_b64 vcc, exec, s[6:7]
	s_mov_b32 s12, s9
	v_mov_b32_e32 v9, v4
	s_cbranch_vccz .LBB2_83
.LBB2_590:                              ;   Parent Loop BB2_84 Depth=1
                                        ; =>  This Inner Loop Header: Depth=2
	s_ashr_i32 s13, s12, 31
	s_lshl_b64 s[4:5], s[12:13], 4
	s_add_u32 s4, s49, s4
	s_addc_u32 s5, s50, s5
	s_load_dwordx4 s[8:11], s[4:5], 0x0
	s_waitcnt lgkmcnt(0)
	v_and_b32_e32 v5, s11, v45
	v_and_b32_e32 v4, s10, v44
	v_cmp_ne_u64_e32 vcc, 0, v[4:5]
	s_and_saveexec_b64 s[4:5], vcc
	s_cbranch_execz .LBB2_592
; %bb.591:                              ;   in Loop: Header=BB2_590 Depth=2
	v_and_b32_e32 v5, s10, v56
	v_and_b32_e32 v4, s11, v57
	v_bcnt_u32_b32 v5, v5, 0
	v_bcnt_u32_b32 v4, v4, v5
	v_add_u32_e32 v4, v47, v4
	ds_write_b8 v4, v46
.LBB2_592:                              ;   in Loop: Header=BB2_590 Depth=2
	s_or_b64 exec, exec, s[4:5]
	s_bcnt1_i32_b64 s15, s[10:11]
	s_bfe_u32 s13, s8, 0x2000f
	s_cmp_lt_i32 s13, 1
	s_cbranch_scc1 .LBB2_595
; %bb.593:                              ;   in Loop: Header=BB2_590 Depth=2
	s_cmp_lg_u32 s13, 1
	s_cbranch_scc0 .LBB2_596
; %bb.594:                              ;   in Loop: Header=BB2_590 Depth=2
	s_mov_b32 s17, 20
	v_mul_u32_u24_e64 v4, s15, 20
	s_movk_i32 s16, 0x140
	s_cbranch_execz .LBB2_597
	s_branch .LBB2_598
.LBB2_595:                              ;   in Loop: Header=BB2_590 Depth=2
                                        ; implicit-def: $vgpr4
                                        ; implicit-def: $sgpr16
                                        ; implicit-def: $sgpr17
	s_branch .LBB2_599
.LBB2_596:                              ;   in Loop: Header=BB2_590 Depth=2
                                        ; implicit-def: $vgpr4
                                        ; implicit-def: $sgpr16
                                        ; implicit-def: $sgpr17
.LBB2_597:                              ;   in Loop: Header=BB2_590 Depth=2
	s_lshl_b32 s4, s15, 3
	s_mov_b32 s17, 8
	s_movk_i32 s16, 0x80
	v_mov_b32_e32 v4, s4
.LBB2_598:                              ;   in Loop: Header=BB2_590 Depth=2
	s_cbranch_execnz .LBB2_600
.LBB2_599:                              ;   in Loop: Header=BB2_590 Depth=2
	s_lshl_b32 s4, s15, 2
	s_mov_b32 s16, 64
	s_mov_b32 s17, 4
	v_mov_b32_e32 v4, s4
.LBB2_600:                              ;   in Loop: Header=BB2_590 Depth=2
	v_cmp_eq_u32_e64 s[4:5], 0, v9
	s_and_saveexec_b64 s[6:7], s[4:5]
	s_cbranch_execz .LBB2_602
; %bb.601:                              ;   in Loop: Header=BB2_590 Depth=2
	v_mov_b32_e32 v5, s16
	ds_write_b32 v42, v5 offset:17008
	s_or_b64 exec, exec, s[6:7]
	v_cmp_lt_i32_e32 vcc, v9, v4
	s_and_saveexec_b64 s[10:11], vcc
	s_cbranch_execz .LBB2_610
	s_branch .LBB2_603
.LBB2_602:                              ;   in Loop: Header=BB2_590 Depth=2
	s_or_b64 exec, exec, s[6:7]
	v_cmp_lt_i32_e32 vcc, v9, v4
	s_and_saveexec_b64 s[10:11], vcc
	s_cbranch_execz .LBB2_610
.LBB2_603:                              ;   in Loop: Header=BB2_590 Depth=2
	v_cvt_f32_u32_e32 v4, s17
	s_sub_i32 s6, 0, s17
	v_sub_u32_e32 v6, 0, v9
	v_max_i32_e32 v6, v9, v6
	v_rcp_iflag_f32_e32 v4, v4
	v_ashrrev_i32_e32 v5, 31, v9
	v_mul_f32_e32 v4, 0x4f7ffffe, v4
	v_cvt_u32_f32_e32 v4, v4
	v_mul_lo_u32 v7, s6, v4
	v_mul_hi_u32 v7, v4, v7
	v_add_u32_e32 v4, v4, v7
	v_mul_hi_u32 v4, v6, v4
	v_mul_lo_u32 v7, v4, s17
	v_sub_u32_e32 v6, v6, v7
	v_add_u32_e32 v8, 1, v4
	v_cmp_le_u32_e32 vcc, s17, v6
	v_subrev_u32_e32 v7, s17, v6
	v_cndmask_b32_e32 v4, v4, v8, vcc
	v_cndmask_b32_e32 v6, v6, v7, vcc
	v_add_u32_e32 v7, 1, v4
	v_cmp_le_u32_e32 vcc, s17, v6
	v_cndmask_b32_e32 v4, v4, v7, vcc
	v_xor_b32_e32 v4, v4, v5
	v_sub_u32_e32 v10, v4, v5
	ds_read_u8 v6, v42 offset:16472
	v_add_u32_e32 v4, v47, v10
	ds_read_u8 v4, v4
	v_mul_lo_u32 v5, v10, s17
	v_sub_u32_e32 v5, v9, v5
	s_waitcnt lgkmcnt(0)
	v_cmp_ne_u16_e64 s[6:7], 0, v6
	s_and_b64 vcc, exec, s[6:7]
	v_lshlrev_b32_e32 v11, 4, v5
	s_cbranch_vccz .LBB2_606
; %bb.604:                              ;   in Loop: Header=BB2_590 Depth=2
	s_and_b64 vcc, exec, s[6:7]
	s_cbranch_vccz .LBB2_607
.LBB2_605:                              ;   in Loop: Header=BB2_590 Depth=2
	ds_read_b32 v12, v42 offset:16476
	ds_read_b64 v[6:7], v42 offset:16480
	v_mul_u32_u24_e32 v4, s16, v4
	v_lshlrev_b32_e32 v8, 4, v5
	v_add3_u32 v4, v8, s9, v4
	s_waitcnt lgkmcnt(0)
	v_and_b32_e32 v4, v12, v4
	v_add_co_u32_e32 v4, vcc, v6, v4
	v_addc_co_u32_e32 v5, vcc, 0, v7, vcc
	flat_load_dwordx4 v[4:7], v[4:5]
	s_cbranch_execz .LBB2_608
	s_branch .LBB2_609
.LBB2_606:                              ;   in Loop: Header=BB2_590 Depth=2
	v_lshlrev_b32_e32 v0, 4, v5
	v_mul_u32_u24_e32 v1, s16, v4
	v_add3_u32 v0, v0, s9, v1
	global_load_dwordx4 v[0:3], v0, s[36:37]
	s_and_b64 vcc, exec, s[6:7]
	s_cbranch_vccnz .LBB2_605
.LBB2_607:                              ;   in Loop: Header=BB2_590 Depth=2
                                        ; implicit-def: $vgpr4_vgpr5_vgpr6_vgpr7
                                        ; implicit-def: $vgpr8
.LBB2_608:                              ;   in Loop: Header=BB2_590 Depth=2
	s_waitcnt vmcnt(0) lgkmcnt(0)
	v_pk_mov_b32 v[6:7], v[2:3], v[2:3] op_sel:[0,1]
	v_mov_b32_e32 v8, v11
	v_pk_mov_b32 v[4:5], v[0:1], v[0:1] op_sel:[0,1]
.LBB2_609:                              ;   in Loop: Header=BB2_590 Depth=2
	s_waitcnt vmcnt(0)
	v_add_u32_e32 v0, s14, v10
	v_mad_u64_u32 v[0:1], s[6:7], v0, s16, v[8:9]
	s_waitcnt lgkmcnt(0)
	ds_write_b128 v0, v[4:7] offset:18704
	v_pk_mov_b32 v[0:1], v[4:5], v[4:5] op_sel:[0,1]
	v_pk_mov_b32 v[2:3], v[6:7], v[6:7] op_sel:[0,1]
.LBB2_610:                              ;   in Loop: Header=BB2_590 Depth=2
	s_or_b64 exec, exec, s[10:11]
	s_bitcmp0_b32 s8, 14
	s_cselect_b64 s[6:7], -1, 0
	s_and_b64 vcc, exec, s[6:7]
	s_cbranch_vccnz .LBB2_612
; %bb.611:                              ;   in Loop: Header=BB2_590 Depth=2
	v_mov_b32_e32 v4, s48
	v_cmp_gt_i32_e32 vcc, 64, v9
	s_and_b32 s9, s8, 0x3fff
	v_cndmask_b32_e32 v4, 0, v4, vcc
	s_add_i32 s9, s9, s12
	v_add3_u32 v4, v9, v4, s52
	s_add_i32 s14, s14, s15
	s_cbranch_execnz .LBB2_589
	s_branch .LBB2_613
.LBB2_612:                              ;   in Loop: Header=BB2_590 Depth=2
                                        ; implicit-def: $vgpr4
                                        ; implicit-def: $sgpr9
	s_add_i32 s14, s14, s15
.LBB2_613:                              ;   in Loop: Header=BB2_590 Depth=2
	s_and_saveexec_b64 s[10:11], s[4:5]
	s_cbranch_execz .LBB2_588
; %bb.614:                              ;   in Loop: Header=BB2_590 Depth=2
	s_and_b32 s4, s8, 0x3fff
	s_add_i32 s5, s4, s12
	s_cmp_lg_u32 s4, 0
	s_cselect_b32 s4, s5, -1
	v_mov_b32_e32 v4, s12
	v_mov_b32_e32 v5, s4
	ds_write_b64 v42, v[4:5] offset:16992
	v_mov_b32_e32 v4, s13
	ds_write_b8 v42, v4 offset:17000
	v_mov_b32_e32 v4, s14
	s_lshr_b32 s4, s8, 17
	ds_write_b32 v42, v4 offset:17004
	v_mov_b32_e32 v4, s4
	v_mov_b32_e32 v9, 0
	ds_write_b16 v42, v4 offset:17002
	s_branch .LBB2_588
	.section	.rodata,"a",@progbits
	.p2align	6, 0x0
	.amdhsa_kernel _Z23ncclDevKernel_Generic_424ncclDevKernelArgsStorageILm4096EE
		.amdhsa_group_segment_fixed_size 19744
		.amdhsa_private_segment_fixed_size 0
		.amdhsa_kernarg_size 4352
		.amdhsa_user_sgpr_count 12
		.amdhsa_user_sgpr_private_segment_buffer 1
		.amdhsa_user_sgpr_dispatch_ptr 1
		.amdhsa_user_sgpr_queue_ptr 0
		.amdhsa_user_sgpr_kernarg_segment_ptr 1
		.amdhsa_user_sgpr_dispatch_id 1
		.amdhsa_user_sgpr_flat_scratch_init 1
		.amdhsa_user_sgpr_kernarg_preload_length 0
		.amdhsa_user_sgpr_kernarg_preload_offset 0
		.amdhsa_user_sgpr_private_segment_size 0
		.amdhsa_uses_dynamic_stack 1
		.amdhsa_system_sgpr_private_segment_wavefront_offset 1
		.amdhsa_system_sgpr_workgroup_id_x 1
		.amdhsa_system_sgpr_workgroup_id_y 1
		.amdhsa_system_sgpr_workgroup_id_z 1
		.amdhsa_system_sgpr_workgroup_info 0
		.amdhsa_system_vgpr_workitem_id 2
		.amdhsa_next_free_vgpr 73
		.amdhsa_next_free_sgpr 54
		.amdhsa_accum_offset 76
		.amdhsa_reserve_vcc 1
		.amdhsa_reserve_flat_scratch 1
		.amdhsa_float_round_mode_32 0
		.amdhsa_float_round_mode_16_64 0
		.amdhsa_float_denorm_mode_32 3
		.amdhsa_float_denorm_mode_16_64 3
		.amdhsa_dx10_clamp 1
		.amdhsa_ieee_mode 1
		.amdhsa_fp16_overflow 0
		.amdhsa_tg_split 0
		.amdhsa_exception_fp_ieee_invalid_op 0
		.amdhsa_exception_fp_denorm_src 0
		.amdhsa_exception_fp_ieee_div_zero 0
		.amdhsa_exception_fp_ieee_overflow 0
		.amdhsa_exception_fp_ieee_underflow 0
		.amdhsa_exception_fp_ieee_inexact 0
		.amdhsa_exception_int_div_zero 0
	.end_amdhsa_kernel
	.text
.Lfunc_end2:
	.size	_Z23ncclDevKernel_Generic_424ncclDevKernelArgsStorageILm4096EE, .Lfunc_end2-_Z23ncclDevKernel_Generic_424ncclDevKernelArgsStorageILm4096EE
                                        ; -- End function
	.section	.AMDGPU.csdata,"",@progbits
; Kernel info:
; codeLenInByte = 15172
; NumSgprs: 60
; NumVgprs: 73
; NumAgprs: 0
; TotalNumVgprs: 73
; ScratchSize: 0
; MemoryBound: 1
; FloatMode: 240
; IeeeMode: 1
; LDSByteSize: 19744 bytes/workgroup (compile time only)
; SGPRBlocks: 7
; VGPRBlocks: 9
; NumSGPRsForWavesPerEU: 60
; NumVGPRsForWavesPerEU: 73
; AccumOffset: 76
; Occupancy: 3
; WaveLimiterHint : 0
; COMPUTE_PGM_RSRC2:SCRATCH_EN: 1
; COMPUTE_PGM_RSRC2:USER_SGPR: 12
; COMPUTE_PGM_RSRC2:TRAP_HANDLER: 0
; COMPUTE_PGM_RSRC2:TGID_X_EN: 1
; COMPUTE_PGM_RSRC2:TGID_Y_EN: 1
; COMPUTE_PGM_RSRC2:TGID_Z_EN: 1
; COMPUTE_PGM_RSRC2:TIDIG_COMP_CNT: 2
; COMPUTE_PGM_RSRC3_GFX90A:ACCUM_OFFSET: 18
; COMPUTE_PGM_RSRC3_GFX90A:TG_SPLIT: 0
	.text
	.p2alignl 6, 3212836864
	.fill 256, 4, 3212836864
	.type	__hip_cuid_e781ab1370f5d14e,@object ; @__hip_cuid_e781ab1370f5d14e
	.section	.bss,"aw",@nobits
	.globl	__hip_cuid_e781ab1370f5d14e
__hip_cuid_e781ab1370f5d14e:
	.byte	0                               ; 0x0
	.size	__hip_cuid_e781ab1370f5d14e, 1

	.hidden	_Z42ncclDevFunc_Broadcast_RING_LL_Sum_i8_0_0_1v
	.hidden	_Z46ncclDevFunc_Broadcast_RING_SIMPLE_Sum_i8_0_0_1v
	.hidden	_Z43ncclDevFunc_Reduce_RING_SIMPLE_Sum_u8_0_0_1v
	.hidden	_Z44ncclDevFunc_Reduce_RING_SIMPLE_Sum_u32_0_0_1v
	.hidden	_Z44ncclDevFunc_Reduce_RING_SIMPLE_Sum_u64_0_0_1v
	.hidden	_Z44ncclDevFunc_Reduce_RING_SIMPLE_Sum_f16_0_0_1v
	.hidden	_Z44ncclDevFunc_Reduce_RING_SIMPLE_Sum_f32_0_0_1v
	.hidden	_Z44ncclDevFunc_Reduce_RING_SIMPLE_Sum_f64_0_0_1v
	.hidden	_Z45ncclDevFunc_Reduce_RING_SIMPLE_Sum_bf16_0_0_1v
	.hidden	_Z45ncclDevFunc_Reduce_RING_SIMPLE_Sum_bf16_0_1_1v
	.hidden	_Z47ncclDevFunc_Reduce_RING_SIMPLE_Sum_f8e4m3_0_0_1v
	.hidden	_Z47ncclDevFunc_Reduce_RING_SIMPLE_Sum_f8e5m2_0_0_1v
	.hidden	_Z44ncclDevFunc_Reduce_RING_SIMPLE_Prod_u8_0_0_1v
	.hidden	_Z45ncclDevFunc_Reduce_RING_SIMPLE_Prod_u32_0_0_1v
	.hidden	_Z45ncclDevFunc_Reduce_RING_SIMPLE_Prod_u64_0_0_1v
	.hidden	_Z45ncclDevFunc_Reduce_RING_SIMPLE_Prod_f16_0_0_1v
	.hidden	_Z45ncclDevFunc_Reduce_RING_SIMPLE_Prod_f32_0_0_1v
	.hidden	_Z45ncclDevFunc_Reduce_RING_SIMPLE_Prod_f64_0_0_1v
	.hidden	_Z46ncclDevFunc_Reduce_RING_SIMPLE_Prod_bf16_0_0_1v
	.hidden	_Z46ncclDevFunc_Reduce_RING_SIMPLE_Prod_bf16_0_1_1v
	.hidden	_Z48ncclDevFunc_Reduce_RING_SIMPLE_Prod_f8e4m3_0_0_1v
	.hidden	_Z48ncclDevFunc_Reduce_RING_SIMPLE_Prod_f8e5m2_0_0_1v
	.hidden	_Z46ncclDevFunc_Reduce_RING_SIMPLE_MinMax_u8_0_0_1v
	.hidden	_Z47ncclDevFunc_Reduce_RING_SIMPLE_MinMax_u32_0_0_1v
	.hidden	_Z47ncclDevFunc_Reduce_RING_SIMPLE_MinMax_u64_0_0_1v
	.hidden	_Z47ncclDevFunc_Reduce_RING_SIMPLE_MinMax_f16_0_0_1v
	.hidden	_Z47ncclDevFunc_Reduce_RING_SIMPLE_MinMax_f32_0_0_1v
	.hidden	_Z47ncclDevFunc_Reduce_RING_SIMPLE_MinMax_f64_0_0_1v
	.hidden	_Z48ncclDevFunc_Reduce_RING_SIMPLE_MinMax_bf16_0_0_1v
	.hidden	_Z48ncclDevFunc_Reduce_RING_SIMPLE_MinMax_bf16_0_1_1v
	.hidden	_Z50ncclDevFunc_Reduce_RING_SIMPLE_MinMax_f8e4m3_0_0_1v
	.hidden	_Z50ncclDevFunc_Reduce_RING_SIMPLE_MinMax_f8e5m2_0_0_1v
	.hidden	_Z49ncclDevFunc_Reduce_RING_SIMPLE_PreMulSum_u8_0_0_1v
	.hidden	_Z50ncclDevFunc_Reduce_RING_SIMPLE_PreMulSum_u32_0_0_1v
	.hidden	_Z50ncclDevFunc_Reduce_RING_SIMPLE_PreMulSum_u64_0_0_1v
	.hidden	_Z50ncclDevFunc_Reduce_RING_SIMPLE_PreMulSum_f16_0_0_1v
	.hidden	_Z50ncclDevFunc_Reduce_RING_SIMPLE_PreMulSum_f32_0_0_1v
	.hidden	_Z50ncclDevFunc_Reduce_RING_SIMPLE_PreMulSum_f64_0_0_1v
	.hidden	_Z51ncclDevFunc_Reduce_RING_SIMPLE_PreMulSum_bf16_0_0_1v
	.hidden	_Z51ncclDevFunc_Reduce_RING_SIMPLE_PreMulSum_bf16_0_1_1v
	.hidden	_Z53ncclDevFunc_Reduce_RING_SIMPLE_PreMulSum_f8e4m3_0_0_1v
	.hidden	_Z53ncclDevFunc_Reduce_RING_SIMPLE_PreMulSum_f8e5m2_0_0_1v
	.hidden	_Z50ncclDevFunc_Reduce_RING_SIMPLE_SumPostDiv_u8_0_0_1v
	.hidden	_Z51ncclDevFunc_Reduce_RING_SIMPLE_SumPostDiv_u32_0_0_1v
	.hidden	_Z51ncclDevFunc_Reduce_RING_SIMPLE_SumPostDiv_u64_0_0_1v
	.hidden	_Z42ncclDevFunc_AllGather_RING_LL_Sum_i8_0_0_1v
	.hidden	_Z46ncclDevFunc_AllGather_RING_SIMPLE_Sum_i8_0_0_1v
	.hidden	_Z41ncclDevFunc_AllGather_PAT_LL_Sum_i8_0_0_1v
	.hidden	_Z45ncclDevFunc_AllGather_PAT_SIMPLE_Sum_i8_0_0_1v
	.hidden	_Z46ncclDevFunc_ReduceScatter_RING_LL_Sum_u8_0_0_1v
	.hidden	_Z47ncclDevFunc_ReduceScatter_RING_LL_Sum_u32_0_0_1v
	.hidden	_Z47ncclDevFunc_ReduceScatter_RING_LL_Sum_u64_0_0_1v
	.hidden	_Z47ncclDevFunc_ReduceScatter_RING_LL_Sum_f16_0_0_1v
	.hidden	_Z47ncclDevFunc_ReduceScatter_RING_LL_Sum_f32_0_0_1v
	.hidden	_Z47ncclDevFunc_ReduceScatter_RING_LL_Sum_f64_0_0_1v
	.hidden	_Z48ncclDevFunc_ReduceScatter_RING_LL_Sum_bf16_0_0_1v
	.hidden	_Z50ncclDevFunc_ReduceScatter_RING_LL_Sum_f8e4m3_0_0_1v
	.hidden	_Z50ncclDevFunc_ReduceScatter_RING_LL_Sum_f8e5m2_0_0_1v
	.hidden	_Z47ncclDevFunc_ReduceScatter_RING_LL_Prod_u8_0_0_1v
	.hidden	_Z48ncclDevFunc_ReduceScatter_RING_LL_Prod_u32_0_0_1v
	.hidden	_Z48ncclDevFunc_ReduceScatter_RING_LL_Prod_u64_0_0_1v
	.hidden	_Z48ncclDevFunc_ReduceScatter_RING_LL_Prod_f16_0_0_1v
	.hidden	_Z48ncclDevFunc_ReduceScatter_RING_LL_Prod_f32_0_0_1v
	.hidden	_Z48ncclDevFunc_ReduceScatter_RING_LL_Prod_f64_0_0_1v
	.hidden	_Z49ncclDevFunc_ReduceScatter_RING_LL_Prod_bf16_0_0_1v
	.hidden	_Z51ncclDevFunc_ReduceScatter_RING_LL_Prod_f8e4m3_0_0_1v
	.hidden	_Z51ncclDevFunc_ReduceScatter_RING_LL_Prod_f8e5m2_0_0_1v
	.hidden	_Z49ncclDevFunc_ReduceScatter_RING_LL_MinMax_u8_0_0_1v
	.hidden	_Z50ncclDevFunc_ReduceScatter_RING_LL_MinMax_u32_0_0_1v
	.hidden	_Z50ncclDevFunc_ReduceScatter_RING_LL_MinMax_u64_0_0_1v
	.hidden	_Z50ncclDevFunc_ReduceScatter_RING_LL_MinMax_f16_0_0_1v
	.hidden	_Z50ncclDevFunc_ReduceScatter_RING_LL_MinMax_f32_0_0_1v
	.hidden	_Z50ncclDevFunc_ReduceScatter_RING_LL_MinMax_f64_0_0_1v
	.hidden	_Z51ncclDevFunc_ReduceScatter_RING_LL_MinMax_bf16_0_0_1v
	.hidden	_Z53ncclDevFunc_ReduceScatter_RING_LL_MinMax_f8e4m3_0_0_1v
	.hidden	_Z53ncclDevFunc_ReduceScatter_RING_LL_MinMax_f8e5m2_0_0_1v
	.hidden	_Z52ncclDevFunc_ReduceScatter_RING_LL_PreMulSum_u8_0_0_1v
	.hidden	_Z53ncclDevFunc_ReduceScatter_RING_LL_PreMulSum_u32_0_0_1v
	.hidden	_Z53ncclDevFunc_ReduceScatter_RING_LL_PreMulSum_u64_0_0_1v
	.hidden	_Z53ncclDevFunc_ReduceScatter_RING_LL_PreMulSum_f16_0_0_1v
	.hidden	_Z53ncclDevFunc_ReduceScatter_RING_LL_PreMulSum_f32_0_0_1v
	.hidden	_Z53ncclDevFunc_ReduceScatter_RING_LL_PreMulSum_f64_0_0_1v
	.hidden	_Z54ncclDevFunc_ReduceScatter_RING_LL_PreMulSum_bf16_0_0_1v
	.hidden	_Z56ncclDevFunc_ReduceScatter_RING_LL_PreMulSum_f8e4m3_0_0_1v
	.hidden	_Z56ncclDevFunc_ReduceScatter_RING_LL_PreMulSum_f8e5m2_0_0_1v
	.hidden	_Z53ncclDevFunc_ReduceScatter_RING_LL_SumPostDiv_u8_0_0_1v
	.hidden	_Z54ncclDevFunc_ReduceScatter_RING_LL_SumPostDiv_u32_0_0_1v
	.hidden	_Z54ncclDevFunc_ReduceScatter_RING_LL_SumPostDiv_u64_0_0_1v
	.hidden	_Z46ncclDevFunc_AllReduce_RING_SIMPLE_Sum_u8_0_0_1v
	.hidden	_Z47ncclDevFunc_AllReduce_RING_SIMPLE_Sum_u32_0_0_1v
	.hidden	_Z47ncclDevFunc_AllReduce_RING_SIMPLE_Sum_u64_0_0_1v
	.hidden	_Z47ncclDevFunc_AllReduce_RING_SIMPLE_Sum_f16_0_0_1v
	.hidden	_Z47ncclDevFunc_AllReduce_RING_SIMPLE_Sum_f32_0_0_1v
	.hidden	_Z47ncclDevFunc_AllReduce_RING_SIMPLE_Sum_f64_0_0_1v
	.hidden	_Z48ncclDevFunc_AllReduce_RING_SIMPLE_Sum_bf16_0_0_1v
	.hidden	_Z48ncclDevFunc_AllReduce_RING_SIMPLE_Sum_bf16_0_1_1v
	.hidden	_Z50ncclDevFunc_AllReduce_RING_SIMPLE_Sum_f8e4m3_0_0_1v
	.hidden	_Z50ncclDevFunc_AllReduce_RING_SIMPLE_Sum_f8e5m2_0_0_1v
	.hidden	_Z47ncclDevFunc_AllReduce_RING_SIMPLE_Prod_u8_0_0_1v
	.hidden	_Z48ncclDevFunc_AllReduce_RING_SIMPLE_Prod_u32_0_0_1v
	.hidden	_Z48ncclDevFunc_AllReduce_RING_SIMPLE_Prod_u64_0_0_1v
	.hidden	_Z48ncclDevFunc_AllReduce_RING_SIMPLE_Prod_f16_0_0_1v
	.hidden	_Z48ncclDevFunc_AllReduce_RING_SIMPLE_Prod_f32_0_0_1v
	.hidden	_Z48ncclDevFunc_AllReduce_RING_SIMPLE_Prod_f64_0_0_1v
	.hidden	_Z49ncclDevFunc_AllReduce_RING_SIMPLE_Prod_bf16_0_0_1v
	.hidden	_Z49ncclDevFunc_AllReduce_RING_SIMPLE_Prod_bf16_0_1_1v
	.hidden	_Z51ncclDevFunc_AllReduce_RING_SIMPLE_Prod_f8e4m3_0_0_1v
	.hidden	_Z51ncclDevFunc_AllReduce_RING_SIMPLE_Prod_f8e5m2_0_0_1v
	.hidden	_Z49ncclDevFunc_AllReduce_RING_SIMPLE_MinMax_u8_0_0_1v
	.hidden	_Z50ncclDevFunc_AllReduce_RING_SIMPLE_MinMax_u32_0_0_1v
	.hidden	_Z50ncclDevFunc_AllReduce_RING_SIMPLE_MinMax_u64_0_0_1v
	.hidden	_Z50ncclDevFunc_AllReduce_RING_SIMPLE_MinMax_f16_0_0_1v
	.hidden	_Z50ncclDevFunc_AllReduce_RING_SIMPLE_MinMax_f32_0_0_1v
	.hidden	_Z50ncclDevFunc_AllReduce_RING_SIMPLE_MinMax_f64_0_0_1v
	.hidden	_Z51ncclDevFunc_AllReduce_RING_SIMPLE_MinMax_bf16_0_0_1v
	.hidden	_Z51ncclDevFunc_AllReduce_RING_SIMPLE_MinMax_bf16_0_1_1v
	.hidden	_Z53ncclDevFunc_AllReduce_RING_SIMPLE_MinMax_f8e4m3_0_0_1v
	.hidden	_Z53ncclDevFunc_AllReduce_RING_SIMPLE_MinMax_f8e5m2_0_0_1v
	.hidden	_Z52ncclDevFunc_AllReduce_RING_SIMPLE_PreMulSum_u8_0_0_1v
	.hidden	_Z53ncclDevFunc_AllReduce_RING_SIMPLE_PreMulSum_u32_0_0_1v
	.hidden	_Z53ncclDevFunc_AllReduce_RING_SIMPLE_PreMulSum_u64_0_0_1v
	.hidden	_Z53ncclDevFunc_AllReduce_RING_SIMPLE_PreMulSum_f16_0_0_1v
	.hidden	_Z53ncclDevFunc_AllReduce_RING_SIMPLE_PreMulSum_f32_0_0_1v
	.hidden	_Z53ncclDevFunc_AllReduce_RING_SIMPLE_PreMulSum_f64_0_0_1v
	.hidden	_Z54ncclDevFunc_AllReduce_RING_SIMPLE_PreMulSum_bf16_0_0_1v
	.hidden	_Z54ncclDevFunc_AllReduce_RING_SIMPLE_PreMulSum_bf16_0_1_1v
	.hidden	_Z56ncclDevFunc_AllReduce_RING_SIMPLE_PreMulSum_f8e4m3_0_0_1v
	.hidden	_Z56ncclDevFunc_AllReduce_RING_SIMPLE_PreMulSum_f8e5m2_0_0_1v
	.hidden	_Z53ncclDevFunc_AllReduce_RING_SIMPLE_SumPostDiv_u8_0_0_1v
	.hidden	_Z54ncclDevFunc_AllReduce_RING_SIMPLE_SumPostDiv_u32_0_0_1v
	.hidden	_Z54ncclDevFunc_AllReduce_RING_SIMPLE_SumPostDiv_u64_0_0_1v
	.hidden	_Z45ncclDevFunc_SendRecv_RING_SIMPLE_Sum_i8_0_0_1v
	.hidden	_Z50ncclDevFunc_AlltoAllPivot_RING_SIMPLE_Sum_i8_0_0_1v
	.hidden	_Z42ncclDevFunc_Broadcast_RING_LL_Sum_i8_0_0_2v
	.hidden	_Z46ncclDevFunc_Broadcast_RING_SIMPLE_Sum_i8_0_0_2v
	.hidden	_Z43ncclDevFunc_Reduce_RING_SIMPLE_Sum_u8_0_0_2v
	.hidden	_Z44ncclDevFunc_Reduce_RING_SIMPLE_Sum_u32_0_0_2v
	.hidden	_Z44ncclDevFunc_Reduce_RING_SIMPLE_Sum_u64_0_0_2v
	.hidden	_Z44ncclDevFunc_Reduce_RING_SIMPLE_Sum_f16_0_0_2v
	.hidden	_Z44ncclDevFunc_Reduce_RING_SIMPLE_Sum_f32_0_0_2v
	.hidden	_Z44ncclDevFunc_Reduce_RING_SIMPLE_Sum_f64_0_0_2v
	.hidden	_Z45ncclDevFunc_Reduce_RING_SIMPLE_Sum_bf16_0_0_2v
	.hidden	_Z45ncclDevFunc_Reduce_RING_SIMPLE_Sum_bf16_0_1_2v
	.hidden	_Z47ncclDevFunc_Reduce_RING_SIMPLE_Sum_f8e4m3_0_0_2v
	.hidden	_Z47ncclDevFunc_Reduce_RING_SIMPLE_Sum_f8e5m2_0_0_2v
	.hidden	_Z44ncclDevFunc_Reduce_RING_SIMPLE_Prod_u8_0_0_2v
	.hidden	_Z45ncclDevFunc_Reduce_RING_SIMPLE_Prod_u32_0_0_2v
	.hidden	_Z45ncclDevFunc_Reduce_RING_SIMPLE_Prod_u64_0_0_2v
	.hidden	_Z45ncclDevFunc_Reduce_RING_SIMPLE_Prod_f16_0_0_2v
	.hidden	_Z45ncclDevFunc_Reduce_RING_SIMPLE_Prod_f32_0_0_2v
	.hidden	_Z45ncclDevFunc_Reduce_RING_SIMPLE_Prod_f64_0_0_2v
	.hidden	_Z46ncclDevFunc_Reduce_RING_SIMPLE_Prod_bf16_0_0_2v
	.hidden	_Z46ncclDevFunc_Reduce_RING_SIMPLE_Prod_bf16_0_1_2v
	.hidden	_Z48ncclDevFunc_Reduce_RING_SIMPLE_Prod_f8e4m3_0_0_2v
	.hidden	_Z48ncclDevFunc_Reduce_RING_SIMPLE_Prod_f8e5m2_0_0_2v
	.hidden	_Z46ncclDevFunc_Reduce_RING_SIMPLE_MinMax_u8_0_0_2v
	.hidden	_Z47ncclDevFunc_Reduce_RING_SIMPLE_MinMax_u32_0_0_2v
	.hidden	_Z47ncclDevFunc_Reduce_RING_SIMPLE_MinMax_u64_0_0_2v
	.hidden	_Z47ncclDevFunc_Reduce_RING_SIMPLE_MinMax_f16_0_0_2v
	.hidden	_Z47ncclDevFunc_Reduce_RING_SIMPLE_MinMax_f32_0_0_2v
	.hidden	_Z47ncclDevFunc_Reduce_RING_SIMPLE_MinMax_f64_0_0_2v
	.hidden	_Z48ncclDevFunc_Reduce_RING_SIMPLE_MinMax_bf16_0_0_2v
	.hidden	_Z48ncclDevFunc_Reduce_RING_SIMPLE_MinMax_bf16_0_1_2v
	.hidden	_Z50ncclDevFunc_Reduce_RING_SIMPLE_MinMax_f8e4m3_0_0_2v
	.hidden	_Z50ncclDevFunc_Reduce_RING_SIMPLE_MinMax_f8e5m2_0_0_2v
	.hidden	_Z49ncclDevFunc_Reduce_RING_SIMPLE_PreMulSum_u8_0_0_2v
	.hidden	_Z50ncclDevFunc_Reduce_RING_SIMPLE_PreMulSum_u32_0_0_2v
	.hidden	_Z50ncclDevFunc_Reduce_RING_SIMPLE_PreMulSum_u64_0_0_2v
	.hidden	_Z50ncclDevFunc_Reduce_RING_SIMPLE_PreMulSum_f16_0_0_2v
	.hidden	_Z50ncclDevFunc_Reduce_RING_SIMPLE_PreMulSum_f32_0_0_2v
	.hidden	_Z50ncclDevFunc_Reduce_RING_SIMPLE_PreMulSum_f64_0_0_2v
	.hidden	_Z51ncclDevFunc_Reduce_RING_SIMPLE_PreMulSum_bf16_0_0_2v
	.hidden	_Z51ncclDevFunc_Reduce_RING_SIMPLE_PreMulSum_bf16_0_1_2v
	.hidden	_Z53ncclDevFunc_Reduce_RING_SIMPLE_PreMulSum_f8e4m3_0_0_2v
	.hidden	_Z53ncclDevFunc_Reduce_RING_SIMPLE_PreMulSum_f8e5m2_0_0_2v
	.hidden	_Z50ncclDevFunc_Reduce_RING_SIMPLE_SumPostDiv_u8_0_0_2v
	.hidden	_Z51ncclDevFunc_Reduce_RING_SIMPLE_SumPostDiv_u32_0_0_2v
	.hidden	_Z51ncclDevFunc_Reduce_RING_SIMPLE_SumPostDiv_u64_0_0_2v
	.hidden	_Z42ncclDevFunc_AllGather_RING_LL_Sum_i8_0_0_2v
	.hidden	_Z46ncclDevFunc_AllGather_RING_SIMPLE_Sum_i8_0_0_2v
	.hidden	_Z41ncclDevFunc_AllGather_PAT_LL_Sum_i8_0_0_2v
	.hidden	_Z45ncclDevFunc_AllGather_PAT_SIMPLE_Sum_i8_0_0_2v
	.hidden	_Z46ncclDevFunc_ReduceScatter_RING_LL_Sum_u8_0_0_2v
	.hidden	_Z47ncclDevFunc_ReduceScatter_RING_LL_Sum_u32_0_0_2v
	.hidden	_Z47ncclDevFunc_ReduceScatter_RING_LL_Sum_u64_0_0_2v
	.hidden	_Z47ncclDevFunc_ReduceScatter_RING_LL_Sum_f16_0_0_2v
	.hidden	_Z47ncclDevFunc_ReduceScatter_RING_LL_Sum_f32_0_0_2v
	.hidden	_Z47ncclDevFunc_ReduceScatter_RING_LL_Sum_f64_0_0_2v
	.hidden	_Z48ncclDevFunc_ReduceScatter_RING_LL_Sum_bf16_0_0_2v
	.hidden	_Z50ncclDevFunc_ReduceScatter_RING_LL_Sum_f8e4m3_0_0_2v
	.hidden	_Z50ncclDevFunc_ReduceScatter_RING_LL_Sum_f8e5m2_0_0_2v
	.hidden	_Z47ncclDevFunc_ReduceScatter_RING_LL_Prod_u8_0_0_2v
	.hidden	_Z48ncclDevFunc_ReduceScatter_RING_LL_Prod_u32_0_0_2v
	.hidden	_Z48ncclDevFunc_ReduceScatter_RING_LL_Prod_u64_0_0_2v
	.hidden	_Z48ncclDevFunc_ReduceScatter_RING_LL_Prod_f16_0_0_2v
	.hidden	_Z48ncclDevFunc_ReduceScatter_RING_LL_Prod_f32_0_0_2v
	.hidden	_Z48ncclDevFunc_ReduceScatter_RING_LL_Prod_f64_0_0_2v
	.hidden	_Z49ncclDevFunc_ReduceScatter_RING_LL_Prod_bf16_0_0_2v
	.hidden	_Z51ncclDevFunc_ReduceScatter_RING_LL_Prod_f8e4m3_0_0_2v
	.hidden	_Z51ncclDevFunc_ReduceScatter_RING_LL_Prod_f8e5m2_0_0_2v
	.hidden	_Z49ncclDevFunc_ReduceScatter_RING_LL_MinMax_u8_0_0_2v
	.hidden	_Z50ncclDevFunc_ReduceScatter_RING_LL_MinMax_u32_0_0_2v
	.hidden	_Z50ncclDevFunc_ReduceScatter_RING_LL_MinMax_u64_0_0_2v
	.hidden	_Z50ncclDevFunc_ReduceScatter_RING_LL_MinMax_f16_0_0_2v
	.hidden	_Z50ncclDevFunc_ReduceScatter_RING_LL_MinMax_f32_0_0_2v
	.hidden	_Z50ncclDevFunc_ReduceScatter_RING_LL_MinMax_f64_0_0_2v
	.hidden	_Z51ncclDevFunc_ReduceScatter_RING_LL_MinMax_bf16_0_0_2v
	.hidden	_Z53ncclDevFunc_ReduceScatter_RING_LL_MinMax_f8e4m3_0_0_2v
	.hidden	_Z53ncclDevFunc_ReduceScatter_RING_LL_MinMax_f8e5m2_0_0_2v
	.hidden	_Z52ncclDevFunc_ReduceScatter_RING_LL_PreMulSum_u8_0_0_2v
	.hidden	_Z53ncclDevFunc_ReduceScatter_RING_LL_PreMulSum_u32_0_0_2v
	.hidden	_Z53ncclDevFunc_ReduceScatter_RING_LL_PreMulSum_u64_0_0_2v
	.hidden	_Z53ncclDevFunc_ReduceScatter_RING_LL_PreMulSum_f16_0_0_2v
	.hidden	_Z53ncclDevFunc_ReduceScatter_RING_LL_PreMulSum_f32_0_0_2v
	.hidden	_Z53ncclDevFunc_ReduceScatter_RING_LL_PreMulSum_f64_0_0_2v
	.hidden	_Z54ncclDevFunc_ReduceScatter_RING_LL_PreMulSum_bf16_0_0_2v
	.hidden	_Z56ncclDevFunc_ReduceScatter_RING_LL_PreMulSum_f8e4m3_0_0_2v
	.hidden	_Z56ncclDevFunc_ReduceScatter_RING_LL_PreMulSum_f8e5m2_0_0_2v
	.hidden	_Z53ncclDevFunc_ReduceScatter_RING_LL_SumPostDiv_u8_0_0_2v
	.hidden	_Z54ncclDevFunc_ReduceScatter_RING_LL_SumPostDiv_u32_0_0_2v
	.hidden	_Z54ncclDevFunc_ReduceScatter_RING_LL_SumPostDiv_u64_0_0_2v
	.hidden	_Z46ncclDevFunc_AllReduce_RING_SIMPLE_Sum_u8_0_0_2v
	.hidden	_Z47ncclDevFunc_AllReduce_RING_SIMPLE_Sum_u32_0_0_2v
	.hidden	_Z47ncclDevFunc_AllReduce_RING_SIMPLE_Sum_u64_0_0_2v
	.hidden	_Z47ncclDevFunc_AllReduce_RING_SIMPLE_Sum_f16_0_0_2v
	.hidden	_Z47ncclDevFunc_AllReduce_RING_SIMPLE_Sum_f32_0_0_2v
	.hidden	_Z47ncclDevFunc_AllReduce_RING_SIMPLE_Sum_f64_0_0_2v
	.hidden	_Z48ncclDevFunc_AllReduce_RING_SIMPLE_Sum_bf16_0_0_2v
	.hidden	_Z48ncclDevFunc_AllReduce_RING_SIMPLE_Sum_bf16_0_1_2v
	.hidden	_Z50ncclDevFunc_AllReduce_RING_SIMPLE_Sum_f8e4m3_0_0_2v
	.hidden	_Z50ncclDevFunc_AllReduce_RING_SIMPLE_Sum_f8e5m2_0_0_2v
	.hidden	_Z47ncclDevFunc_AllReduce_RING_SIMPLE_Prod_u8_0_0_2v
	.hidden	_Z48ncclDevFunc_AllReduce_RING_SIMPLE_Prod_u32_0_0_2v
	.hidden	_Z48ncclDevFunc_AllReduce_RING_SIMPLE_Prod_u64_0_0_2v
	.hidden	_Z48ncclDevFunc_AllReduce_RING_SIMPLE_Prod_f16_0_0_2v
	.hidden	_Z48ncclDevFunc_AllReduce_RING_SIMPLE_Prod_f32_0_0_2v
	.hidden	_Z48ncclDevFunc_AllReduce_RING_SIMPLE_Prod_f64_0_0_2v
	.hidden	_Z49ncclDevFunc_AllReduce_RING_SIMPLE_Prod_bf16_0_0_2v
	.hidden	_Z49ncclDevFunc_AllReduce_RING_SIMPLE_Prod_bf16_0_1_2v
	.hidden	_Z51ncclDevFunc_AllReduce_RING_SIMPLE_Prod_f8e4m3_0_0_2v
	.hidden	_Z51ncclDevFunc_AllReduce_RING_SIMPLE_Prod_f8e5m2_0_0_2v
	.hidden	_Z49ncclDevFunc_AllReduce_RING_SIMPLE_MinMax_u8_0_0_2v
	.hidden	_Z50ncclDevFunc_AllReduce_RING_SIMPLE_MinMax_u32_0_0_2v
	.hidden	_Z50ncclDevFunc_AllReduce_RING_SIMPLE_MinMax_u64_0_0_2v
	.hidden	_Z50ncclDevFunc_AllReduce_RING_SIMPLE_MinMax_f16_0_0_2v
	.hidden	_Z50ncclDevFunc_AllReduce_RING_SIMPLE_MinMax_f32_0_0_2v
	.hidden	_Z50ncclDevFunc_AllReduce_RING_SIMPLE_MinMax_f64_0_0_2v
	.hidden	_Z51ncclDevFunc_AllReduce_RING_SIMPLE_MinMax_bf16_0_0_2v
	.hidden	_Z51ncclDevFunc_AllReduce_RING_SIMPLE_MinMax_bf16_0_1_2v
	.hidden	_Z53ncclDevFunc_AllReduce_RING_SIMPLE_MinMax_f8e4m3_0_0_2v
	.hidden	_Z53ncclDevFunc_AllReduce_RING_SIMPLE_MinMax_f8e5m2_0_0_2v
	.hidden	_Z52ncclDevFunc_AllReduce_RING_SIMPLE_PreMulSum_u8_0_0_2v
	.hidden	_Z53ncclDevFunc_AllReduce_RING_SIMPLE_PreMulSum_u32_0_0_2v
	.hidden	_Z53ncclDevFunc_AllReduce_RING_SIMPLE_PreMulSum_u64_0_0_2v
	.hidden	_Z53ncclDevFunc_AllReduce_RING_SIMPLE_PreMulSum_f16_0_0_2v
	.hidden	_Z53ncclDevFunc_AllReduce_RING_SIMPLE_PreMulSum_f32_0_0_2v
	.hidden	_Z53ncclDevFunc_AllReduce_RING_SIMPLE_PreMulSum_f64_0_0_2v
	.hidden	_Z54ncclDevFunc_AllReduce_RING_SIMPLE_PreMulSum_bf16_0_0_2v
	.hidden	_Z54ncclDevFunc_AllReduce_RING_SIMPLE_PreMulSum_bf16_0_1_2v
	.hidden	_Z56ncclDevFunc_AllReduce_RING_SIMPLE_PreMulSum_f8e4m3_0_0_2v
	.hidden	_Z56ncclDevFunc_AllReduce_RING_SIMPLE_PreMulSum_f8e5m2_0_0_2v
	.hidden	_Z53ncclDevFunc_AllReduce_RING_SIMPLE_SumPostDiv_u8_0_0_2v
	.hidden	_Z54ncclDevFunc_AllReduce_RING_SIMPLE_SumPostDiv_u32_0_0_2v
	.hidden	_Z54ncclDevFunc_AllReduce_RING_SIMPLE_SumPostDiv_u64_0_0_2v
	.hidden	_Z45ncclDevFunc_SendRecv_RING_SIMPLE_Sum_i8_0_0_2v
	.hidden	_Z50ncclDevFunc_AlltoAllPivot_RING_SIMPLE_Sum_i8_0_0_2v
	.hidden	_Z42ncclDevFunc_Broadcast_RING_LL_Sum_i8_0_0_4v
	.hidden	_Z46ncclDevFunc_Broadcast_RING_SIMPLE_Sum_i8_0_0_4v
	.hidden	_Z43ncclDevFunc_Reduce_RING_SIMPLE_Sum_u8_0_0_4v
	.hidden	_Z44ncclDevFunc_Reduce_RING_SIMPLE_Sum_u32_0_0_4v
	.hidden	_Z44ncclDevFunc_Reduce_RING_SIMPLE_Sum_u64_0_0_4v
	.hidden	_Z44ncclDevFunc_Reduce_RING_SIMPLE_Sum_f16_0_0_4v
	.hidden	_Z44ncclDevFunc_Reduce_RING_SIMPLE_Sum_f32_0_0_4v
	.hidden	_Z44ncclDevFunc_Reduce_RING_SIMPLE_Sum_f64_0_0_4v
	.hidden	_Z45ncclDevFunc_Reduce_RING_SIMPLE_Sum_bf16_0_0_4v
	.hidden	_Z45ncclDevFunc_Reduce_RING_SIMPLE_Sum_bf16_0_1_4v
	.hidden	_Z47ncclDevFunc_Reduce_RING_SIMPLE_Sum_f8e4m3_0_0_4v
	.hidden	_Z47ncclDevFunc_Reduce_RING_SIMPLE_Sum_f8e5m2_0_0_4v
	.hidden	_Z44ncclDevFunc_Reduce_RING_SIMPLE_Prod_u8_0_0_4v
	.hidden	_Z45ncclDevFunc_Reduce_RING_SIMPLE_Prod_u32_0_0_4v
	.hidden	_Z45ncclDevFunc_Reduce_RING_SIMPLE_Prod_u64_0_0_4v
	.hidden	_Z45ncclDevFunc_Reduce_RING_SIMPLE_Prod_f16_0_0_4v
	.hidden	_Z45ncclDevFunc_Reduce_RING_SIMPLE_Prod_f32_0_0_4v
	.hidden	_Z45ncclDevFunc_Reduce_RING_SIMPLE_Prod_f64_0_0_4v
	.hidden	_Z46ncclDevFunc_Reduce_RING_SIMPLE_Prod_bf16_0_0_4v
	.hidden	_Z46ncclDevFunc_Reduce_RING_SIMPLE_Prod_bf16_0_1_4v
	.hidden	_Z48ncclDevFunc_Reduce_RING_SIMPLE_Prod_f8e4m3_0_0_4v
	.hidden	_Z48ncclDevFunc_Reduce_RING_SIMPLE_Prod_f8e5m2_0_0_4v
	.hidden	_Z46ncclDevFunc_Reduce_RING_SIMPLE_MinMax_u8_0_0_4v
	.hidden	_Z47ncclDevFunc_Reduce_RING_SIMPLE_MinMax_u32_0_0_4v
	.hidden	_Z47ncclDevFunc_Reduce_RING_SIMPLE_MinMax_u64_0_0_4v
	.hidden	_Z47ncclDevFunc_Reduce_RING_SIMPLE_MinMax_f16_0_0_4v
	.hidden	_Z47ncclDevFunc_Reduce_RING_SIMPLE_MinMax_f32_0_0_4v
	.hidden	_Z47ncclDevFunc_Reduce_RING_SIMPLE_MinMax_f64_0_0_4v
	.hidden	_Z48ncclDevFunc_Reduce_RING_SIMPLE_MinMax_bf16_0_0_4v
	.hidden	_Z48ncclDevFunc_Reduce_RING_SIMPLE_MinMax_bf16_0_1_4v
	.hidden	_Z50ncclDevFunc_Reduce_RING_SIMPLE_MinMax_f8e4m3_0_0_4v
	.hidden	_Z50ncclDevFunc_Reduce_RING_SIMPLE_MinMax_f8e5m2_0_0_4v
	.hidden	_Z49ncclDevFunc_Reduce_RING_SIMPLE_PreMulSum_u8_0_0_4v
	.hidden	_Z50ncclDevFunc_Reduce_RING_SIMPLE_PreMulSum_u32_0_0_4v
	.hidden	_Z50ncclDevFunc_Reduce_RING_SIMPLE_PreMulSum_u64_0_0_4v
	.hidden	_Z50ncclDevFunc_Reduce_RING_SIMPLE_PreMulSum_f16_0_0_4v
	.hidden	_Z50ncclDevFunc_Reduce_RING_SIMPLE_PreMulSum_f32_0_0_4v
	.hidden	_Z50ncclDevFunc_Reduce_RING_SIMPLE_PreMulSum_f64_0_0_4v
	.hidden	_Z51ncclDevFunc_Reduce_RING_SIMPLE_PreMulSum_bf16_0_0_4v
	.hidden	_Z51ncclDevFunc_Reduce_RING_SIMPLE_PreMulSum_bf16_0_1_4v
	.hidden	_Z53ncclDevFunc_Reduce_RING_SIMPLE_PreMulSum_f8e4m3_0_0_4v
	.hidden	_Z53ncclDevFunc_Reduce_RING_SIMPLE_PreMulSum_f8e5m2_0_0_4v
	.hidden	_Z50ncclDevFunc_Reduce_RING_SIMPLE_SumPostDiv_u8_0_0_4v
	.hidden	_Z51ncclDevFunc_Reduce_RING_SIMPLE_SumPostDiv_u32_0_0_4v
	.hidden	_Z51ncclDevFunc_Reduce_RING_SIMPLE_SumPostDiv_u64_0_0_4v
	.hidden	_Z42ncclDevFunc_AllGather_RING_LL_Sum_i8_0_0_4v
	.hidden	_Z46ncclDevFunc_AllGather_RING_SIMPLE_Sum_i8_0_0_4v
	.hidden	_Z41ncclDevFunc_AllGather_PAT_LL_Sum_i8_0_0_4v
	.hidden	_Z45ncclDevFunc_AllGather_PAT_SIMPLE_Sum_i8_0_0_4v
	.hidden	_Z46ncclDevFunc_ReduceScatter_RING_LL_Sum_u8_0_0_4v
	.hidden	_Z47ncclDevFunc_ReduceScatter_RING_LL_Sum_u32_0_0_4v
	.hidden	_Z47ncclDevFunc_ReduceScatter_RING_LL_Sum_u64_0_0_4v
	.hidden	_Z47ncclDevFunc_ReduceScatter_RING_LL_Sum_f16_0_0_4v
	.hidden	_Z47ncclDevFunc_ReduceScatter_RING_LL_Sum_f32_0_0_4v
	.hidden	_Z47ncclDevFunc_ReduceScatter_RING_LL_Sum_f64_0_0_4v
	.hidden	_Z48ncclDevFunc_ReduceScatter_RING_LL_Sum_bf16_0_0_4v
	.hidden	_Z50ncclDevFunc_ReduceScatter_RING_LL_Sum_f8e4m3_0_0_4v
	.hidden	_Z50ncclDevFunc_ReduceScatter_RING_LL_Sum_f8e5m2_0_0_4v
	.hidden	_Z47ncclDevFunc_ReduceScatter_RING_LL_Prod_u8_0_0_4v
	.hidden	_Z48ncclDevFunc_ReduceScatter_RING_LL_Prod_u32_0_0_4v
	.hidden	_Z48ncclDevFunc_ReduceScatter_RING_LL_Prod_u64_0_0_4v
	.hidden	_Z48ncclDevFunc_ReduceScatter_RING_LL_Prod_f16_0_0_4v
	.hidden	_Z48ncclDevFunc_ReduceScatter_RING_LL_Prod_f32_0_0_4v
	.hidden	_Z48ncclDevFunc_ReduceScatter_RING_LL_Prod_f64_0_0_4v
	.hidden	_Z49ncclDevFunc_ReduceScatter_RING_LL_Prod_bf16_0_0_4v
	.hidden	_Z51ncclDevFunc_ReduceScatter_RING_LL_Prod_f8e4m3_0_0_4v
	.hidden	_Z51ncclDevFunc_ReduceScatter_RING_LL_Prod_f8e5m2_0_0_4v
	.hidden	_Z49ncclDevFunc_ReduceScatter_RING_LL_MinMax_u8_0_0_4v
	.hidden	_Z50ncclDevFunc_ReduceScatter_RING_LL_MinMax_u32_0_0_4v
	.hidden	_Z50ncclDevFunc_ReduceScatter_RING_LL_MinMax_u64_0_0_4v
	.hidden	_Z50ncclDevFunc_ReduceScatter_RING_LL_MinMax_f16_0_0_4v
	.hidden	_Z50ncclDevFunc_ReduceScatter_RING_LL_MinMax_f32_0_0_4v
	.hidden	_Z50ncclDevFunc_ReduceScatter_RING_LL_MinMax_f64_0_0_4v
	.hidden	_Z51ncclDevFunc_ReduceScatter_RING_LL_MinMax_bf16_0_0_4v
	.hidden	_Z53ncclDevFunc_ReduceScatter_RING_LL_MinMax_f8e4m3_0_0_4v
	.hidden	_Z53ncclDevFunc_ReduceScatter_RING_LL_MinMax_f8e5m2_0_0_4v
	.hidden	_Z52ncclDevFunc_ReduceScatter_RING_LL_PreMulSum_u8_0_0_4v
	.hidden	_Z53ncclDevFunc_ReduceScatter_RING_LL_PreMulSum_u32_0_0_4v
	.hidden	_Z53ncclDevFunc_ReduceScatter_RING_LL_PreMulSum_u64_0_0_4v
	.hidden	_Z53ncclDevFunc_ReduceScatter_RING_LL_PreMulSum_f16_0_0_4v
	.hidden	_Z53ncclDevFunc_ReduceScatter_RING_LL_PreMulSum_f32_0_0_4v
	.hidden	_Z53ncclDevFunc_ReduceScatter_RING_LL_PreMulSum_f64_0_0_4v
	.hidden	_Z54ncclDevFunc_ReduceScatter_RING_LL_PreMulSum_bf16_0_0_4v
	.hidden	_Z56ncclDevFunc_ReduceScatter_RING_LL_PreMulSum_f8e4m3_0_0_4v
	.hidden	_Z56ncclDevFunc_ReduceScatter_RING_LL_PreMulSum_f8e5m2_0_0_4v
	.hidden	_Z53ncclDevFunc_ReduceScatter_RING_LL_SumPostDiv_u8_0_0_4v
	.hidden	_Z54ncclDevFunc_ReduceScatter_RING_LL_SumPostDiv_u32_0_0_4v
	.hidden	_Z54ncclDevFunc_ReduceScatter_RING_LL_SumPostDiv_u64_0_0_4v
	.hidden	_Z46ncclDevFunc_AllReduce_RING_SIMPLE_Sum_u8_0_0_4v
	.hidden	_Z47ncclDevFunc_AllReduce_RING_SIMPLE_Sum_u32_0_0_4v
	.hidden	_Z47ncclDevFunc_AllReduce_RING_SIMPLE_Sum_u64_0_0_4v
	.hidden	_Z47ncclDevFunc_AllReduce_RING_SIMPLE_Sum_f16_0_0_4v
	.hidden	_Z47ncclDevFunc_AllReduce_RING_SIMPLE_Sum_f32_0_0_4v
	.hidden	_Z47ncclDevFunc_AllReduce_RING_SIMPLE_Sum_f64_0_0_4v
	.hidden	_Z48ncclDevFunc_AllReduce_RING_SIMPLE_Sum_bf16_0_0_4v
	.hidden	_Z48ncclDevFunc_AllReduce_RING_SIMPLE_Sum_bf16_0_1_4v
	.hidden	_Z50ncclDevFunc_AllReduce_RING_SIMPLE_Sum_f8e4m3_0_0_4v
	.hidden	_Z50ncclDevFunc_AllReduce_RING_SIMPLE_Sum_f8e5m2_0_0_4v
	.hidden	_Z47ncclDevFunc_AllReduce_RING_SIMPLE_Prod_u8_0_0_4v
	.hidden	_Z48ncclDevFunc_AllReduce_RING_SIMPLE_Prod_u32_0_0_4v
	.hidden	_Z48ncclDevFunc_AllReduce_RING_SIMPLE_Prod_u64_0_0_4v
	.hidden	_Z48ncclDevFunc_AllReduce_RING_SIMPLE_Prod_f16_0_0_4v
	.hidden	_Z48ncclDevFunc_AllReduce_RING_SIMPLE_Prod_f32_0_0_4v
	.hidden	_Z48ncclDevFunc_AllReduce_RING_SIMPLE_Prod_f64_0_0_4v
	.hidden	_Z49ncclDevFunc_AllReduce_RING_SIMPLE_Prod_bf16_0_0_4v
	.hidden	_Z49ncclDevFunc_AllReduce_RING_SIMPLE_Prod_bf16_0_1_4v
	.hidden	_Z51ncclDevFunc_AllReduce_RING_SIMPLE_Prod_f8e4m3_0_0_4v
	.hidden	_Z51ncclDevFunc_AllReduce_RING_SIMPLE_Prod_f8e5m2_0_0_4v
	.hidden	_Z49ncclDevFunc_AllReduce_RING_SIMPLE_MinMax_u8_0_0_4v
	.hidden	_Z50ncclDevFunc_AllReduce_RING_SIMPLE_MinMax_u32_0_0_4v
	.hidden	_Z50ncclDevFunc_AllReduce_RING_SIMPLE_MinMax_u64_0_0_4v
	.hidden	_Z50ncclDevFunc_AllReduce_RING_SIMPLE_MinMax_f16_0_0_4v
	.hidden	_Z50ncclDevFunc_AllReduce_RING_SIMPLE_MinMax_f32_0_0_4v
	.hidden	_Z50ncclDevFunc_AllReduce_RING_SIMPLE_MinMax_f64_0_0_4v
	.hidden	_Z51ncclDevFunc_AllReduce_RING_SIMPLE_MinMax_bf16_0_0_4v
	.hidden	_Z51ncclDevFunc_AllReduce_RING_SIMPLE_MinMax_bf16_0_1_4v
	.hidden	_Z53ncclDevFunc_AllReduce_RING_SIMPLE_MinMax_f8e4m3_0_0_4v
	.hidden	_Z53ncclDevFunc_AllReduce_RING_SIMPLE_MinMax_f8e5m2_0_0_4v
	.hidden	_Z52ncclDevFunc_AllReduce_RING_SIMPLE_PreMulSum_u8_0_0_4v
	.hidden	_Z53ncclDevFunc_AllReduce_RING_SIMPLE_PreMulSum_u32_0_0_4v
	.hidden	_Z53ncclDevFunc_AllReduce_RING_SIMPLE_PreMulSum_u64_0_0_4v
	.hidden	_Z53ncclDevFunc_AllReduce_RING_SIMPLE_PreMulSum_f16_0_0_4v
	.hidden	_Z53ncclDevFunc_AllReduce_RING_SIMPLE_PreMulSum_f32_0_0_4v
	.hidden	_Z53ncclDevFunc_AllReduce_RING_SIMPLE_PreMulSum_f64_0_0_4v
	.hidden	_Z54ncclDevFunc_AllReduce_RING_SIMPLE_PreMulSum_bf16_0_0_4v
	.hidden	_Z54ncclDevFunc_AllReduce_RING_SIMPLE_PreMulSum_bf16_0_1_4v
	.hidden	_Z56ncclDevFunc_AllReduce_RING_SIMPLE_PreMulSum_f8e4m3_0_0_4v
	.hidden	_Z56ncclDevFunc_AllReduce_RING_SIMPLE_PreMulSum_f8e5m2_0_0_4v
	.hidden	_Z53ncclDevFunc_AllReduce_RING_SIMPLE_SumPostDiv_u8_0_0_4v
	.hidden	_Z54ncclDevFunc_AllReduce_RING_SIMPLE_SumPostDiv_u32_0_0_4v
	.hidden	_Z54ncclDevFunc_AllReduce_RING_SIMPLE_SumPostDiv_u64_0_0_4v
	.hidden	_Z45ncclDevFunc_SendRecv_RING_SIMPLE_Sum_i8_0_0_4v
	.hidden	_Z50ncclDevFunc_AlltoAllPivot_RING_SIMPLE_Sum_i8_0_0_4v
	.ident	"AMD clang version 19.0.0git (https://github.com/RadeonOpenCompute/llvm-project roc-6.4.0 25133 c7fe45cf4b819c5991fe208aaa96edf142730f1d)"
	.section	".note.GNU-stack","",@progbits
	.addrsig
	.addrsig_sym __hip_cuid_e781ab1370f5d14e
	.amdgpu_metadata
---
amdhsa.kernels:
  - .agpr_count:     0
    .args:
      - .offset:         0
        .size:           4096
        .value_kind:     by_value
      - .offset:         4096
        .size:           4
        .value_kind:     hidden_block_count_x
      - .offset:         4100
        .size:           4
        .value_kind:     hidden_block_count_y
      - .offset:         4104
        .size:           4
        .value_kind:     hidden_block_count_z
      - .offset:         4108
        .size:           2
        .value_kind:     hidden_group_size_x
      - .offset:         4110
        .size:           2
        .value_kind:     hidden_group_size_y
      - .offset:         4112
        .size:           2
        .value_kind:     hidden_group_size_z
      - .offset:         4114
        .size:           2
        .value_kind:     hidden_remainder_x
      - .offset:         4116
        .size:           2
        .value_kind:     hidden_remainder_y
      - .offset:         4118
        .size:           2
        .value_kind:     hidden_remainder_z
      - .offset:         4136
        .size:           8
        .value_kind:     hidden_global_offset_x
      - .offset:         4144
        .size:           8
        .value_kind:     hidden_global_offset_y
      - .offset:         4152
        .size:           8
        .value_kind:     hidden_global_offset_z
      - .offset:         4160
        .size:           2
        .value_kind:     hidden_grid_dims
      - .offset:         4176
        .size:           8
        .value_kind:     hidden_hostcall_buffer
      - .offset:         4184
        .size:           8
        .value_kind:     hidden_multigrid_sync_arg
      - .offset:         4192
        .size:           8
        .value_kind:     hidden_heap_v1
      - .offset:         4200
        .size:           8
        .value_kind:     hidden_default_queue
      - .offset:         4208
        .size:           8
        .value_kind:     hidden_completion_action
      - .offset:         4296
        .size:           8
        .value_kind:     hidden_queue_ptr
    .group_segment_fixed_size: 19744
    .kernarg_segment_align: 16
    .kernarg_segment_size: 4352
    .language:       OpenCL C
    .language_version:
      - 2
      - 0
    .max_flat_workgroup_size: 256
    .name:           _Z23ncclDevKernel_Generic_124ncclDevKernelArgsStorageILm4096EE
    .private_segment_fixed_size: 0
    .sgpr_count:     60
    .sgpr_spill_count: 0
    .symbol:         _Z23ncclDevKernel_Generic_124ncclDevKernelArgsStorageILm4096EE.kd
    .uniform_work_group_size: 1
    .uses_dynamic_stack: true
    .vgpr_count:     73
    .vgpr_spill_count: 0
    .wavefront_size: 64
  - .agpr_count:     0
    .args:
      - .offset:         0
        .size:           4096
        .value_kind:     by_value
      - .offset:         4096
        .size:           4
        .value_kind:     hidden_block_count_x
      - .offset:         4100
        .size:           4
        .value_kind:     hidden_block_count_y
      - .offset:         4104
        .size:           4
        .value_kind:     hidden_block_count_z
      - .offset:         4108
        .size:           2
        .value_kind:     hidden_group_size_x
      - .offset:         4110
        .size:           2
        .value_kind:     hidden_group_size_y
      - .offset:         4112
        .size:           2
        .value_kind:     hidden_group_size_z
      - .offset:         4114
        .size:           2
        .value_kind:     hidden_remainder_x
      - .offset:         4116
        .size:           2
        .value_kind:     hidden_remainder_y
      - .offset:         4118
        .size:           2
        .value_kind:     hidden_remainder_z
      - .offset:         4136
        .size:           8
        .value_kind:     hidden_global_offset_x
      - .offset:         4144
        .size:           8
        .value_kind:     hidden_global_offset_y
      - .offset:         4152
        .size:           8
        .value_kind:     hidden_global_offset_z
      - .offset:         4160
        .size:           2
        .value_kind:     hidden_grid_dims
      - .offset:         4176
        .size:           8
        .value_kind:     hidden_hostcall_buffer
      - .offset:         4184
        .size:           8
        .value_kind:     hidden_multigrid_sync_arg
      - .offset:         4192
        .size:           8
        .value_kind:     hidden_heap_v1
      - .offset:         4200
        .size:           8
        .value_kind:     hidden_default_queue
      - .offset:         4208
        .size:           8
        .value_kind:     hidden_completion_action
      - .offset:         4296
        .size:           8
        .value_kind:     hidden_queue_ptr
    .group_segment_fixed_size: 19744
    .kernarg_segment_align: 16
    .kernarg_segment_size: 4352
    .language:       OpenCL C
    .language_version:
      - 2
      - 0
    .max_flat_workgroup_size: 256
    .name:           _Z23ncclDevKernel_Generic_224ncclDevKernelArgsStorageILm4096EE
    .private_segment_fixed_size: 0
    .sgpr_count:     60
    .sgpr_spill_count: 0
    .symbol:         _Z23ncclDevKernel_Generic_224ncclDevKernelArgsStorageILm4096EE.kd
    .uniform_work_group_size: 1
    .uses_dynamic_stack: true
    .vgpr_count:     73
    .vgpr_spill_count: 0
    .wavefront_size: 64
  - .agpr_count:     0
    .args:
      - .offset:         0
        .size:           4096
        .value_kind:     by_value
      - .offset:         4096
        .size:           4
        .value_kind:     hidden_block_count_x
      - .offset:         4100
        .size:           4
        .value_kind:     hidden_block_count_y
      - .offset:         4104
        .size:           4
        .value_kind:     hidden_block_count_z
      - .offset:         4108
        .size:           2
        .value_kind:     hidden_group_size_x
      - .offset:         4110
        .size:           2
        .value_kind:     hidden_group_size_y
      - .offset:         4112
        .size:           2
        .value_kind:     hidden_group_size_z
      - .offset:         4114
        .size:           2
        .value_kind:     hidden_remainder_x
      - .offset:         4116
        .size:           2
        .value_kind:     hidden_remainder_y
      - .offset:         4118
        .size:           2
        .value_kind:     hidden_remainder_z
      - .offset:         4136
        .size:           8
        .value_kind:     hidden_global_offset_x
      - .offset:         4144
        .size:           8
        .value_kind:     hidden_global_offset_y
      - .offset:         4152
        .size:           8
        .value_kind:     hidden_global_offset_z
      - .offset:         4160
        .size:           2
        .value_kind:     hidden_grid_dims
      - .offset:         4176
        .size:           8
        .value_kind:     hidden_hostcall_buffer
      - .offset:         4184
        .size:           8
        .value_kind:     hidden_multigrid_sync_arg
      - .offset:         4192
        .size:           8
        .value_kind:     hidden_heap_v1
      - .offset:         4200
        .size:           8
        .value_kind:     hidden_default_queue
      - .offset:         4208
        .size:           8
        .value_kind:     hidden_completion_action
      - .offset:         4296
        .size:           8
        .value_kind:     hidden_queue_ptr
    .group_segment_fixed_size: 19744
    .kernarg_segment_align: 16
    .kernarg_segment_size: 4352
    .language:       OpenCL C
    .language_version:
      - 2
      - 0
    .max_flat_workgroup_size: 256
    .name:           _Z23ncclDevKernel_Generic_424ncclDevKernelArgsStorageILm4096EE
    .private_segment_fixed_size: 0
    .sgpr_count:     60
    .sgpr_spill_count: 0
    .symbol:         _Z23ncclDevKernel_Generic_424ncclDevKernelArgsStorageILm4096EE.kd
    .uniform_work_group_size: 1
    .uses_dynamic_stack: true
    .vgpr_count:     73
    .vgpr_spill_count: 0
    .wavefront_size: 64
amdhsa.target:   amdgcn-amd-amdhsa--gfx90a
amdhsa.version:
  - 1
  - 2
...

	.end_amdgpu_metadata
